;; amdgpu-corpus repo=ROCm/rocFFT kind=compiled arch=gfx1030 opt=O3
	.text
	.amdgcn_target "amdgcn-amd-amdhsa--gfx1030"
	.amdhsa_code_object_version 6
	.protected	bluestein_single_back_len882_dim1_dp_op_CI_CI ; -- Begin function bluestein_single_back_len882_dim1_dp_op_CI_CI
	.globl	bluestein_single_back_len882_dim1_dp_op_CI_CI
	.p2align	8
	.type	bluestein_single_back_len882_dim1_dp_op_CI_CI,@function
bluestein_single_back_len882_dim1_dp_op_CI_CI: ; @bluestein_single_back_len882_dim1_dp_op_CI_CI
; %bb.0:
	s_load_dwordx4 s[12:15], s[4:5], 0x28
	v_mul_u32_u24_e32 v1, 0x411, v0
	s_mov_b64 s[30:31], s[2:3]
	s_mov_b64 s[28:29], s[0:1]
	v_mov_b32_e32 v223, 0
	s_add_u32 s28, s28, s7
	v_lshrrev_b32_e32 v1, 16, v1
	s_addc_u32 s29, s29, 0
	s_mov_b32 s0, exec_lo
	v_add_nc_u32_e32 v222, s6, v1
	s_waitcnt lgkmcnt(0)
	v_cmpx_gt_u64_e64 s[12:13], v[222:223]
	s_cbranch_execz .LBB0_15
; %bb.1:
	s_clause 0x1
	s_load_dwordx4 s[8:11], s[4:5], 0x18
	s_load_dwordx2 s[6:7], s[4:5], 0x0
	v_mul_lo_u16 v1, v1, 63
	v_sub_nc_u16 v110, v0, v1
	v_and_b32_e32 v224, 0xffff, v110
	v_lshlrev_b32_e32 v223, 4, v224
	s_waitcnt lgkmcnt(0)
	s_load_dwordx4 s[0:3], s[8:9], 0x0
	s_clause 0x1
	global_load_dwordx4 v[4:7], v223, s[6:7]
	global_load_dwordx4 v[0:3], v223, s[6:7] offset:1568
	v_add_co_u32 v216, s8, s6, v223
	v_add_co_ci_u32_e64 v217, null, s7, 0, s8
	v_add_co_u32 v17, vcc_lo, 0x800, v216
	v_add_co_ci_u32_e32 v18, vcc_lo, 0, v217, vcc_lo
	v_add_co_u32 v15, vcc_lo, 0x1000, v216
	buffer_store_dword v17, off, s[28:31], 0 offset:40 ; 4-byte Folded Spill
	buffer_store_dword v18, off, s[28:31], 0 offset:44 ; 4-byte Folded Spill
	v_add_co_ci_u32_e32 v16, vcc_lo, 0, v217, vcc_lo
	v_add_co_u32 v26, vcc_lo, 0x1800, v216
	s_waitcnt lgkmcnt(0)
	v_mad_u64_u32 v[8:9], null, s2, v222, 0
	v_mad_u64_u32 v[10:11], null, s0, v224, 0
	v_add_co_ci_u32_e32 v27, vcc_lo, 0, v217, vcc_lo
	v_add_co_u32 v68, vcc_lo, 0x2000, v216
	v_add_co_ci_u32_e32 v69, vcc_lo, 0, v217, vcc_lo
	v_mad_u64_u32 v[12:13], null, s3, v222, v[9:10]
	v_add_co_u32 v66, vcc_lo, 0x2800, v216
	v_add_co_ci_u32_e32 v67, vcc_lo, 0, v217, vcc_lo
	v_add_co_u32 v30, vcc_lo, 0x3000, v216
	v_mad_u64_u32 v[13:14], null, s1, v224, v[11:12]
	v_mov_b32_e32 v9, v12
	v_add_co_ci_u32_e32 v31, vcc_lo, 0, v217, vcc_lo
	s_mul_i32 s3, s1, 0x62
	s_mul_hi_u32 s6, s0, 0x62
	v_lshlrev_b64 v[8:9], 4, v[8:9]
	v_mov_b32_e32 v11, v13
	s_mul_i32 s2, s0, 0x62
	s_add_i32 s3, s6, s3
	s_lshl_b64 s[6:7], s[2:3], 4
	v_lshlrev_b64 v[10:11], 4, v[10:11]
	v_add_co_u32 v8, vcc_lo, s14, v8
	v_add_co_ci_u32_e32 v9, vcc_lo, s15, v9, vcc_lo
	v_add_co_u32 v20, vcc_lo, v8, v10
	v_add_co_ci_u32_e32 v21, vcc_lo, v9, v11, vcc_lo
	;; [unrolled: 2-line block ×4, first 2 shown]
	global_load_dwordx4 v[32:35], v[17:18], off offset:1088
	buffer_store_dword v15, off, s[28:31], 0 offset:24 ; 4-byte Folded Spill
	buffer_store_dword v16, off, s[28:31], 0 offset:28 ; 4-byte Folded Spill
	s_clause 0x1
	global_load_dwordx4 v[16:19], v[15:16], off offset:608
	global_load_dwordx4 v[12:15], v[26:27], off offset:128
	buffer_store_dword v26, off, s[28:31], 0 offset:16 ; 4-byte Folded Spill
	buffer_store_dword v27, off, s[28:31], 0 offset:20 ; 4-byte Folded Spill
	global_load_dwordx4 v[8:11], v[26:27], off offset:1696
	v_add_co_u32 v26, vcc_lo, v24, s6
	v_add_co_ci_u32_e32 v27, vcc_lo, s7, v25, vcc_lo
	s_clause 0x1
	global_load_dwordx4 v[38:41], v[20:21], off
	global_load_dwordx4 v[42:45], v[22:23], off
	v_add_co_u32 v20, vcc_lo, v26, s6
	v_add_co_ci_u32_e32 v21, vcc_lo, s7, v27, vcc_lo
	s_clause 0x1
	global_load_dwordx4 v[46:49], v[24:25], off
	global_load_dwordx4 v[50:53], v[26:27], off
	v_add_co_u32 v22, vcc_lo, v20, s6
	v_add_co_ci_u32_e32 v23, vcc_lo, s7, v21, vcc_lo
	global_load_dwordx4 v[54:57], v[20:21], off
	v_add_co_u32 v20, vcc_lo, v22, s6
	v_add_co_ci_u32_e32 v21, vcc_lo, s7, v23, vcc_lo
	global_load_dwordx4 v[58:61], v[22:23], off
	v_add_co_u32 v28, vcc_lo, v20, s6
	global_load_dwordx4 v[62:65], v[20:21], off
	buffer_store_dword v68, off, s[28:31], 0 offset:32 ; 4-byte Folded Spill
	buffer_store_dword v69, off, s[28:31], 0 offset:36 ; 4-byte Folded Spill
	v_add_co_ci_u32_e32 v29, vcc_lo, s7, v21, vcc_lo
	v_add_co_u32 v36, vcc_lo, v28, s6
	v_add_co_ci_u32_e32 v37, vcc_lo, s7, v29, vcc_lo
	v_cmp_gt_u16_e32 vcc_lo, 35, v110
	s_waitcnt vmcnt(6)
	v_mul_f64 v[74:75], v[40:41], v[6:7]
	v_mul_f64 v[76:77], v[38:39], v[6:7]
	s_waitcnt vmcnt(5)
	v_mul_f64 v[78:79], v[44:45], v[2:3]
	v_mul_f64 v[80:81], v[42:43], v[2:3]
	;; [unrolled: 3-line block ×6, first 2 shown]
	global_load_dwordx4 v[24:27], v[68:69], off offset:1216
	buffer_store_dword v66, off, s[28:31], 0 offset:8 ; 4-byte Folded Spill
	buffer_store_dword v67, off, s[28:31], 0 offset:12 ; 4-byte Folded Spill
	global_load_dwordx4 v[20:23], v[66:67], off offset:736
	global_load_dwordx4 v[66:69], v[28:29], off
	buffer_store_dword v30, off, s[28:31], 0 ; 4-byte Folded Spill
	buffer_store_dword v31, off, s[28:31], 0 offset:4 ; 4-byte Folded Spill
	s_waitcnt vmcnt(2)
	v_mul_f64 v[98:99], v[64:65], v[26:27]
	v_mul_f64 v[100:101], v[62:63], v[26:27]
	v_fma_f64 v[38:39], v[38:39], v[4:5], v[74:75]
	v_fma_f64 v[40:41], v[40:41], v[4:5], -v[76:77]
	v_fma_f64 v[58:59], v[58:59], v[8:9], v[94:95]
	v_fma_f64 v[60:61], v[60:61], v[8:9], -v[96:97]
	;; [unrolled: 2-line block ×6, first 2 shown]
	global_load_dwordx4 v[28:31], v[30:31], off offset:256
	global_load_dwordx4 v[70:73], v[36:37], off
	s_waitcnt vmcnt(2)
	v_mul_f64 v[102:103], v[68:69], v[22:23]
	v_mul_f64 v[104:105], v[66:67], v[22:23]
	v_fma_f64 v[62:63], v[62:63], v[24:25], v[98:99]
	v_fma_f64 v[64:65], v[64:65], v[24:25], -v[100:101]
	s_load_dwordx2 s[2:3], s[4:5], 0x38
	s_load_dwordx4 s[8:11], s[10:11], 0x0
	ds_write_b128 v223, v[38:41]
	ds_write_b128 v223, v[42:45] offset:1568
	ds_write_b128 v223, v[46:49] offset:3136
	;; [unrolled: 1-line block ×4, first 2 shown]
	v_fma_f64 v[66:67], v[66:67], v[20:21], v[102:103]
	v_fma_f64 v[68:69], v[68:69], v[20:21], -v[104:105]
	s_waitcnt vmcnt(0)
	v_mul_f64 v[106:107], v[72:73], v[30:31]
	v_mul_f64 v[108:109], v[70:71], v[30:31]
	v_fma_f64 v[70:71], v[70:71], v[28:29], v[106:107]
	v_fma_f64 v[72:73], v[72:73], v[28:29], -v[108:109]
	ds_write_b128 v223, v[58:61] offset:7840
	ds_write_b128 v223, v[62:65] offset:9408
	;; [unrolled: 1-line block ×4, first 2 shown]
	s_and_saveexec_b32 s12, vcc_lo
	s_cbranch_execz .LBB0_3
; %bb.2:
	v_mad_u64_u32 v[56:57], null, 0xffffd2f0, s0, v[36:37]
	global_load_dwordx4 v[36:39], v[216:217], off offset:1008
	s_clause 0x1
	buffer_load_dword v40, off, s[28:31], 0 offset:40
	buffer_load_dword v41, off, s[28:31], 0 offset:44
	s_mulk_i32 s1, 0xd2f0
	s_sub_i32 s0, s1, s0
	v_add_nc_u32_e32 v57, s0, v57
	v_add_co_u32 v60, s0, v56, s6
	v_add_co_ci_u32_e64 v61, s0, s7, v57, s0
	v_add_co_u32 v64, s0, v60, s6
	v_add_co_ci_u32_e64 v65, s0, s7, v61, s0
	;; [unrolled: 2-line block ×8, first 2 shown]
	s_waitcnt vmcnt(0)
	global_load_dwordx4 v[40:43], v[40:41], off offset:528
	s_clause 0x1
	buffer_load_dword v48, off, s[28:31], 0 offset:24
	buffer_load_dword v49, off, s[28:31], 0 offset:28
	s_waitcnt vmcnt(0)
	s_clause 0x1
	global_load_dwordx4 v[44:47], v[48:49], off offset:48
	global_load_dwordx4 v[48:51], v[48:49], off offset:1616
	s_clause 0x1
	buffer_load_dword v52, off, s[28:31], 0 offset:16
	buffer_load_dword v53, off, s[28:31], 0 offset:20
	global_load_dwordx4 v[56:59], v[56:57], off
	s_waitcnt vmcnt(1)
	global_load_dwordx4 v[52:55], v[52:53], off offset:1136
	global_load_dwordx4 v[60:63], v[60:61], off
	global_load_dwordx4 v[64:67], v[64:65], off
	;; [unrolled: 1-line block ×5, first 2 shown]
	s_clause 0x1
	buffer_load_dword v80, off, s[28:31], 0 offset:32
	buffer_load_dword v81, off, s[28:31], 0 offset:36
	global_load_dwordx4 v[84:87], v[84:85], off
	s_waitcnt vmcnt(9)
	v_mul_f64 v[108:109], v[58:59], v[38:39]
	v_mul_f64 v[38:39], v[56:57], v[38:39]
	s_waitcnt vmcnt(7)
	v_mul_f64 v[110:111], v[62:63], v[42:43]
	v_mul_f64 v[42:43], v[60:61], v[42:43]
	;; [unrolled: 3-line block ×3, first 2 shown]
	s_waitcnt vmcnt(5)
	v_mul_f64 v[114:115], v[70:71], v[50:51]
	s_waitcnt vmcnt(1)
	global_load_dwordx4 v[80:83], v[80:81], off offset:656
	s_clause 0x1
	buffer_load_dword v96, off, s[28:31], 0 offset:8
	buffer_load_dword v97, off, s[28:31], 0 offset:12
	v_mul_f64 v[50:51], v[68:69], v[50:51]
	v_mul_f64 v[116:117], v[74:75], v[54:55]
	;; [unrolled: 1-line block ×3, first 2 shown]
	v_fma_f64 v[54:55], v[56:57], v[36:37], v[108:109]
	v_fma_f64 v[56:57], v[58:59], v[36:37], -v[38:39]
	s_waitcnt vmcnt(0)
	global_load_dwordx4 v[88:91], v[96:97], off offset:176
	global_load_dwordx4 v[92:95], v[92:93], off
	global_load_dwordx4 v[96:99], v[96:97], off offset:1744
	s_clause 0x1
	buffer_load_dword v100, off, s[28:31], 0
	buffer_load_dword v101, off, s[28:31], 0 offset:4
	v_mul_f64 v[120:121], v[78:79], v[82:83]
	v_mul_f64 v[82:83], v[76:77], v[82:83]
	v_fma_f64 v[36:37], v[60:61], v[40:41], v[110:111]
	v_fma_f64 v[38:39], v[62:63], v[40:41], -v[42:43]
	v_fma_f64 v[40:41], v[64:65], v[44:45], v[112:113]
	v_fma_f64 v[42:43], v[66:67], v[44:45], -v[46:47]
	;; [unrolled: 2-line block ×4, first 2 shown]
	s_waitcnt vmcnt(0)
	global_load_dwordx4 v[100:103], v[100:101], off offset:1264
	global_load_dwordx4 v[104:107], v[104:105], off
	v_mul_f64 v[122:123], v[86:87], v[90:91]
	v_mul_f64 v[90:91], v[84:85], v[90:91]
	;; [unrolled: 1-line block ×4, first 2 shown]
	v_fma_f64 v[58:59], v[76:77], v[80:81], v[120:121]
	v_fma_f64 v[60:61], v[78:79], v[80:81], -v[82:83]
	v_fma_f64 v[62:63], v[84:85], v[88:89], v[122:123]
	v_fma_f64 v[64:65], v[86:87], v[88:89], -v[90:91]
	;; [unrolled: 2-line block ×3, first 2 shown]
	s_waitcnt vmcnt(0)
	v_mul_f64 v[126:127], v[106:107], v[102:103]
	v_mul_f64 v[102:103], v[104:105], v[102:103]
	v_fma_f64 v[70:71], v[104:105], v[100:101], v[126:127]
	v_fma_f64 v[72:73], v[106:107], v[100:101], -v[102:103]
	ds_write_b128 v223, v[54:57] offset:1008
	ds_write_b128 v223, v[36:39] offset:2576
	;; [unrolled: 1-line block ×9, first 2 shown]
.LBB0_3:
	s_or_b32 exec_lo, exec_lo, s12
	s_waitcnt lgkmcnt(0)
	s_waitcnt_vscnt null, 0x0
	s_barrier
	buffer_gl0_inv
	ds_read_b128 v[48:51], v223
	ds_read_b128 v[92:95], v223 offset:1568
	ds_read_b128 v[88:91], v223 offset:3136
	;; [unrolled: 1-line block ×8, first 2 shown]
	s_load_dwordx2 s[0:1], s[4:5], 0x8
                                        ; implicit-def: $vgpr36_vgpr37
                                        ; implicit-def: $vgpr68_vgpr69
                                        ; implicit-def: $vgpr72_vgpr73
                                        ; implicit-def: $vgpr60_vgpr61
                                        ; implicit-def: $vgpr40_vgpr41
                                        ; implicit-def: $vgpr44_vgpr45
                                        ; implicit-def: $vgpr64_vgpr65
                                        ; implicit-def: $vgpr76_vgpr77
                                        ; implicit-def: $vgpr80_vgpr81
	s_and_saveexec_b32 s4, vcc_lo
	s_cbranch_execz .LBB0_5
; %bb.4:
	ds_read_b128 v[36:39], v223 offset:1008
	ds_read_b128 v[68:71], v223 offset:2576
	;; [unrolled: 1-line block ×9, first 2 shown]
.LBB0_5:
	s_or_b32 exec_lo, exec_lo, s4
	s_waitcnt lgkmcnt(0)
	v_add_f64 v[108:109], v[94:95], -v[106:107]
	v_add_f64 v[110:111], v[92:93], v[104:105]
	s_mov_b32 s24, 0x523c161c
	s_mov_b32 s20, 0xa2cf5039
	;; [unrolled: 1-line block ×4, first 2 shown]
	v_add_f64 v[106:107], v[94:95], v[106:107]
	v_add_f64 v[94:95], v[88:89], v[100:101]
	;; [unrolled: 1-line block ×5, first 2 shown]
	v_add_f64 v[104:105], v[92:93], -v[104:105]
	v_add_f64 v[88:89], v[88:89], -v[100:101]
	;; [unrolled: 1-line block ×7, first 2 shown]
	v_add_f64 v[102:103], v[56:57], v[52:53]
	v_add_f64 v[118:119], v[58:59], v[54:55]
	s_mov_b32 s18, 0x8c811c17
	s_mov_b32 s16, 0x7e0b738b
	v_mul_f64 v[84:85], v[108:109], s[24:25]
	v_fma_f64 v[86:87], v[110:111], s[20:21], v[48:49]
	s_mov_b32 s19, 0x3fef838b
	s_mov_b32 s17, 0x3fc63a1a
	;; [unrolled: 1-line block ×4, first 2 shown]
	v_fma_f64 v[126:127], v[106:107], s[20:21], v[50:51]
	s_mov_b32 s4, 0xe8584cab
	s_mov_b32 s5, 0x3febb67a
	v_add_f64 v[120:121], v[68:69], v[80:81]
	v_add_f64 v[122:123], v[70:71], v[82:83]
	v_mul_f64 v[124:125], v[104:105], s[24:25]
	v_add_f64 v[140:141], v[72:73], v[76:77]
	v_add_f64 v[142:143], v[74:75], v[78:79]
	v_add_f64 v[68:69], v[68:69], -v[80:81]
	v_add_f64 v[70:71], v[70:71], -v[82:83]
	v_mul_f64 v[128:129], v[92:93], s[22:23]
	v_mul_f64 v[130:131], v[100:101], s[22:23]
	v_fma_f64 v[132:133], v[102:103], s[20:21], v[48:49]
	v_fma_f64 v[134:135], v[118:119], s[20:21], v[50:51]
	v_add_f64 v[72:73], v[72:73], -v[76:77]
	v_add_f64 v[74:75], v[74:75], -v[78:79]
	v_fma_f64 v[136:137], v[90:91], s[18:19], v[84:85]
	v_fma_f64 v[138:139], v[94:95], s[16:17], v[86:87]
	v_add_f64 v[76:77], v[40:41], -v[44:45]
	v_add_f64 v[78:79], v[42:43], -v[46:47]
	v_add_f64 v[144:145], v[40:41], v[44:45]
	v_add_f64 v[146:147], v[42:43], v[46:47]
	;; [unrolled: 1-line block ×4, first 2 shown]
	v_mul_f64 v[156:157], v[92:93], s[18:19]
	v_mul_f64 v[158:159], v[100:101], s[18:19]
	s_mov_b32 s6, 0x748a0bf8
	v_fma_f64 v[82:83], v[88:89], s[18:19], v[124:125]
	v_fma_f64 v[124:125], v[112:113], s[16:17], v[126:127]
	s_mov_b32 s12, 0x42522d1b
	s_mov_b32 s7, 0x3fd5e3a8
	;; [unrolled: 1-line block ×3, first 2 shown]
	v_fma_f64 v[126:127], v[104:105], s[18:19], v[128:129]
	v_fma_f64 v[128:129], v[108:109], s[18:19], v[130:131]
	;; [unrolled: 1-line block ×4, first 2 shown]
	s_mov_b32 s15, 0xbfebb67a
	s_mov_b32 s14, s4
	v_fma_f64 v[134:135], v[98:99], s[4:5], v[136:137]
	v_fma_f64 v[136:137], v[114:115], -0.5, v[138:139]
	v_add_f64 v[138:139], v[100:101], v[108:109]
	v_add_f64 v[148:149], v[48:49], v[114:115]
	;; [unrolled: 1-line block ×3, first 2 shown]
	v_fma_f64 v[160:161], v[94:95], s[20:21], v[48:49]
	v_fma_f64 v[162:163], v[112:113], s[20:21], v[50:51]
	v_mul_f64 v[164:165], v[68:69], s[24:25]
	v_mul_f64 v[166:167], v[70:71], s[24:25]
	v_fma_f64 v[168:169], v[120:121], s[20:21], v[36:37]
	v_fma_f64 v[170:171], v[122:123], s[20:21], v[38:39]
	v_mul_f64 v[172:173], v[76:77], s[22:23]
	v_fma_f64 v[82:83], v[96:97], s[4:5], v[82:83]
	v_fma_f64 v[124:125], v[116:117], -0.5, v[124:125]
	v_fma_f64 v[174:175], v[144:145], s[20:21], v[36:37]
	v_fma_f64 v[176:177], v[146:147], s[20:21], v[38:39]
	;; [unrolled: 1-line block ×4, first 2 shown]
	v_fma_f64 v[130:131], v[114:115], -0.5, v[130:131]
	v_fma_f64 v[132:133], v[116:117], -0.5, v[132:133]
	v_mul_f64 v[178:179], v[76:77], s[18:19]
	v_mul_f64 v[180:181], v[78:79], s[18:19]
	v_fma_f64 v[134:135], v[100:101], s[6:7], v[134:135]
	v_fma_f64 v[100:101], v[102:103], s[12:13], v[136:137]
	v_mul_f64 v[136:137], v[78:79], s[22:23]
	v_fma_f64 v[182:183], v[140:141], s[20:21], v[36:37]
	v_fma_f64 v[184:185], v[142:143], s[20:21], v[38:39]
	v_add_f64 v[186:187], v[80:81], -v[88:89]
	v_add_f64 v[80:81], v[102:103], v[152:153]
	v_fma_f64 v[156:157], v[88:89], s[22:23], -v[156:157]
	v_fma_f64 v[158:159], v[90:91], s[22:23], -v[158:159]
	v_add_f64 v[84:85], v[60:61], v[64:65]
	v_add_f64 v[86:87], v[62:63], v[66:67]
	v_add_f64 v[138:139], v[138:139], -v[90:91]
	v_add_f64 v[188:189], v[118:119], v[154:155]
	v_fma_f64 v[102:103], v[102:103], s[16:17], v[160:161]
	v_fma_f64 v[160:161], v[118:119], s[16:17], v[162:163]
	;; [unrolled: 1-line block ×8, first 2 shown]
	v_add_f64 v[60:61], v[60:61], -v[64:65]
	v_add_f64 v[62:63], v[62:63], -v[66:67]
	v_add_f64 v[93:94], v[134:135], v[100:101]
	v_fma_f64 v[64:65], v[72:73], s[18:19], v[164:165]
	v_fma_f64 v[66:67], v[74:75], s[18:19], v[166:167]
	;; [unrolled: 1-line block ×8, first 2 shown]
	v_fma_f64 v[148:149], v[80:81], -0.5, v[148:149]
	v_fma_f64 v[95:96], v[96:97], s[4:5], v[156:157]
	v_fma_f64 v[97:98], v[98:99], s[4:5], v[158:159]
	v_add_f64 v[80:81], v[140:141], v[120:121]
	v_add_f64 v[82:83], v[142:143], v[122:123]
	v_fma_f64 v[156:157], v[74:75], s[22:23], -v[180:181]
	v_fma_f64 v[158:159], v[144:145], s[16:17], v[182:183]
	v_fma_f64 v[164:165], v[72:73], s[22:23], -v[178:179]
	v_fma_f64 v[166:167], v[146:147], s[16:17], v[184:185]
	v_add_f64 v[150:151], v[50:51], v[116:117]
	v_add_f64 v[152:153], v[114:115], v[152:153]
	;; [unrolled: 1-line block ×3, first 2 shown]
	v_fma_f64 v[102:103], v[114:115], -0.5, v[102:103]
	v_fma_f64 v[114:115], v[116:117], -0.5, v[160:161]
	v_fma_f64 v[64:65], v[60:61], s[4:5], v[64:65]
	v_fma_f64 v[66:67], v[62:63], s[4:5], v[66:67]
	v_fma_f64 v[99:100], v[84:85], -0.5, v[100:101]
	v_fma_f64 v[116:117], v[86:87], -0.5, v[126:127]
	v_fma_f64 v[126:127], v[60:61], s[14:15], v[128:129]
	v_fma_f64 v[128:129], v[62:63], s[14:15], v[130:131]
	v_fma_f64 v[130:131], v[84:85], -0.5, v[132:133]
	v_fma_f64 v[132:133], v[86:87], -0.5, v[136:137]
	v_add_f64 v[136:137], v[76:77], v[68:69]
	v_add_f64 v[160:161], v[78:79], v[70:71]
	;; [unrolled: 1-line block ×6, first 2 shown]
	v_fma_f64 v[62:63], v[62:63], s[4:5], v[156:157]
	v_fma_f64 v[156:157], v[84:85], -0.5, v[158:159]
	v_fma_f64 v[158:159], v[104:105], s[6:7], v[95:96]
	v_fma_f64 v[60:61], v[60:61], s[4:5], v[164:165]
	v_fma_f64 v[104:105], v[86:87], -0.5, v[166:167]
	v_fma_f64 v[150:151], v[188:189], -0.5, v[150:151]
	v_fma_f64 v[164:165], v[108:109], s[6:7], v[97:98]
	v_add_f64 v[56:57], v[56:57], v[152:153]
	v_add_f64 v[58:59], v[58:59], v[154:155]
	v_fma_f64 v[108:109], v[110:111], s[12:13], v[102:103]
	v_fma_f64 v[110:111], v[106:107], s[12:13], v[114:115]
	;; [unrolled: 1-line block ×10, first 2 shown]
	v_add_f64 v[72:73], v[136:137], -v[72:73]
	v_add_f64 v[74:75], v[160:161], -v[74:75]
	v_fma_f64 v[130:131], v[172:173], -0.5, v[168:169]
	v_fma_f64 v[132:133], v[174:175], -0.5, v[170:171]
	v_fma_f64 v[62:63], v[70:71], s[6:7], v[62:63]
	v_fma_f64 v[120:121], v[120:121], s[12:13], v[156:157]
	;; [unrolled: 1-line block ×4, first 2 shown]
	v_add_f64 v[95:96], v[118:119], -v[162:163]
	v_add_f64 v[97:98], v[124:125], v[90:91]
	v_add_f64 v[99:100], v[112:113], -v[88:89]
	v_mul_f64 v[122:123], v[186:187], s[4:5]
	v_mul_f64 v[118:119], v[138:139], s[4:5]
	v_fma_f64 v[101:102], v[138:139], s[4:5], v[148:149]
	v_fma_f64 v[103:104], v[186:187], s[14:15], v[150:151]
	v_add_f64 v[124:125], v[52:53], v[56:57]
	v_add_f64 v[138:139], v[54:55], v[58:59]
	;; [unrolled: 1-line block ×3, first 2 shown]
	v_add_f64 v[107:108], v[110:111], -v[158:159]
	v_add_f64 v[76:77], v[66:67], v[76:77]
	v_add_f64 v[78:79], v[78:79], -v[64:65]
	v_add_f64 v[68:69], v[114:115], v[128:129]
	v_add_f64 v[70:71], v[116:117], -v[126:127]
	v_mul_f64 v[140:141], v[72:73], s[4:5]
	v_mul_f64 v[142:143], v[74:75], s[4:5]
	v_fma_f64 v[56:57], v[74:75], s[4:5], v[130:131]
	v_fma_f64 v[58:59], v[72:73], s[14:15], v[132:133]
	v_add_f64 v[52:53], v[62:63], v[120:121]
	v_fma_f64 v[109:110], v[134:135], -2.0, v[93:94]
	v_add_f64 v[54:55], v[60:61], -v[136:137]
	v_fma_f64 v[111:112], v[162:163], 2.0, v[95:96]
	v_fma_f64 v[113:114], v[90:91], -2.0, v[97:98]
	v_fma_f64 v[115:116], v[88:89], 2.0, v[99:100]
	v_mul_lo_u16 v92, v224, 9
	v_fma_f64 v[117:118], v[118:119], -2.0, v[101:102]
	v_fma_f64 v[119:120], v[122:123], 2.0, v[103:104]
	v_add_f64 v[48:49], v[48:49], v[124:125]
	v_add_f64 v[50:51], v[50:51], v[138:139]
	v_fma_f64 v[121:122], v[164:165], -2.0, v[105:106]
	v_fma_f64 v[123:124], v[158:159], 2.0, v[107:108]
	v_fma_f64 v[88:89], v[66:67], -2.0, v[76:77]
	v_fma_f64 v[90:91], v[64:65], 2.0, v[78:79]
	;; [unrolled: 2-line block ×3, first 2 shown]
	v_mov_b32_e32 v125, 4
	s_barrier
	v_fma_f64 v[64:65], v[142:143], -2.0, v[56:57]
	v_fma_f64 v[66:67], v[140:141], 2.0, v[58:59]
	v_fma_f64 v[60:61], v[62:63], -2.0, v[52:53]
	v_lshlrev_b32_sdwa v226, v125, v92 dst_sel:DWORD dst_unused:UNUSED_PAD src0_sel:DWORD src1_sel:WORD_0
	v_fma_f64 v[62:63], v[136:137], 2.0, v[54:55]
	v_add_co_u32 v92, s4, v224, 63
	v_add_co_ci_u32_e64 v125, null, 0, 0, s4
	buffer_gl0_inv
	v_mul_u32_u24_e32 v225, 9, v92
	ds_write_b128 v226, v[48:51]
	ds_write_b128 v226, v[93:96] offset:16
	ds_write_b128 v226, v[97:100] offset:32
	;; [unrolled: 1-line block ×8, first 2 shown]
	s_and_saveexec_b32 s4, vcc_lo
	s_cbranch_execz .LBB0_7
; %bb.6:
	v_add_f64 v[48:49], v[86:87], v[82:83]
	v_add_f64 v[50:51], v[84:85], v[80:81]
	;; [unrolled: 1-line block ×8, first 2 shown]
	v_lshlrev_b32_e32 v40, 4, v225
	ds_write_b128 v40, v[76:79] offset:16
	ds_write_b128 v40, v[68:71] offset:32
	;; [unrolled: 1-line block ×7, first 2 shown]
	ds_write_b128 v40, v[36:39]
	ds_write_b128 v40, v[88:91] offset:128
.LBB0_7:
	s_or_b32 exec_lo, exec_lo, s4
	v_and_b32_e32 v36, 0xff, v224
	s_waitcnt lgkmcnt(0)
	s_barrier
	buffer_gl0_inv
	v_mov_b32_e32 v198, 63
	v_mul_lo_u16 v36, v36, 57
	s_mov_b32 s26, 0xe976ee23
	s_mov_b32 s12, 0x429ad128
	s_mov_b32 s18, 0x37e14327
	s_mov_b32 s27, 0xbfe11646
	v_lshrrev_b16 v178, 9, v36
	s_mov_b32 s13, 0x3febfeb5
	s_mov_b32 s19, 0x3fe948f6
	;; [unrolled: 1-line block ×4, first 2 shown]
	v_mul_lo_u16 v36, v178, 9
	v_mul_u32_u24_sdwa v178, v178, v198 dst_sel:DWORD dst_unused:UNUSED_PAD src0_sel:WORD_0 src1_sel:DWORD
	s_mov_b32 s16, 0xb247c609
	s_mov_b32 s15, 0xbff2aaaa
	;; [unrolled: 1-line block ×3, first 2 shown]
	v_sub_nc_u16 v36, v224, v36
	s_mov_b32 s17, 0x3fd5d0dc
	s_mov_b32 s23, 0xbfd5d0dc
	;; [unrolled: 1-line block ×4, first 2 shown]
	v_and_b32_e32 v179, 0xff, v36
	s_mov_b32 s6, 0x37c3f68c
	s_mov_b32 s25, 0x3fe77f67
	;; [unrolled: 1-line block ×4, first 2 shown]
	v_mul_u32_u24_e32 v36, 6, v179
	v_add_lshl_u32 v227, v178, v179, 4
	s_mov_b32 s20, s24
	v_lshlrev_b32_e32 v56, 4, v36
	s_clause 0x5
	global_load_dwordx4 v[48:51], v56, s[0:1]
	global_load_dwordx4 v[44:47], v56, s[0:1] offset:16
	global_load_dwordx4 v[40:43], v56, s[0:1] offset:32
	;; [unrolled: 1-line block ×5, first 2 shown]
	ds_read_b128 v[68:71], v223 offset:2016
	ds_read_b128 v[76:79], v223 offset:4032
	;; [unrolled: 1-line block ×9, first 2 shown]
	s_waitcnt vmcnt(5) lgkmcnt(8)
	v_mul_f64 v[101:102], v[70:71], v[50:51]
	s_waitcnt vmcnt(4) lgkmcnt(7)
	v_mul_f64 v[108:109], v[78:79], v[46:47]
	v_mul_f64 v[103:104], v[68:69], v[50:51]
	;; [unrolled: 1-line block ×3, first 2 shown]
	s_waitcnt vmcnt(3) lgkmcnt(6)
	v_mul_f64 v[116:117], v[80:81], v[42:43]
	v_mul_f64 v[114:115], v[82:83], v[42:43]
	v_fma_f64 v[106:107], v[68:69], v[48:49], -v[101:102]
	v_fma_f64 v[110:111], v[76:77], v[44:45], -v[108:109]
	s_waitcnt vmcnt(2) lgkmcnt(4)
	v_mul_f64 v[76:77], v[84:85], v[38:39]
	v_fma_f64 v[104:105], v[70:71], v[48:49], v[103:104]
	ds_read_b128 v[68:71], v223 offset:10080
	v_fma_f64 v[108:109], v[78:79], v[44:45], v[112:113]
	v_fma_f64 v[112:113], v[82:83], v[40:41], v[116:117]
	v_mul_f64 v[101:102], v[86:87], v[38:39]
	v_fma_f64 v[114:115], v[80:81], v[40:41], -v[114:115]
	v_fma_f64 v[116:117], v[86:87], v[36:37], v[76:77]
	s_waitcnt vmcnt(1) lgkmcnt(0)
	v_mul_f64 v[76:77], v[70:71], v[54:55]
	v_fma_f64 v[120:121], v[84:85], v[36:37], -v[101:102]
	v_add_f64 v[158:159], v[112:113], v[116:117]
	v_fma_f64 v[146:147], v[68:69], v[52:53], -v[76:77]
	v_mul_f64 v[68:69], v[68:69], v[54:55]
	v_add_f64 v[112:113], v[116:117], -v[112:113]
	v_add_f64 v[160:161], v[110:111], v[146:147]
	v_fma_f64 v[144:145], v[70:71], v[52:53], v[68:69]
	ds_read_b128 v[68:71], v223 offset:12096
	ds_read_b128 v[152:155], v223 offset:13104
	v_add_f64 v[110:111], v[110:111], -v[146:147]
	s_waitcnt vmcnt(0) lgkmcnt(1)
	v_mul_f64 v[76:77], v[70:71], v[58:59]
	v_add_f64 v[162:163], v[108:109], v[144:145]
	v_fma_f64 v[150:151], v[68:69], v[56:57], -v[76:77]
	v_mul_f64 v[68:69], v[68:69], v[58:59]
	v_fma_f64 v[148:149], v[70:71], v[56:57], v[68:69]
	v_and_b32_e32 v68, 0xff, v92
	v_mul_lo_u16 v68, v68, 57
	v_lshrrev_b16 v180, 9, v68
	v_mul_lo_u16 v68, v180, 9
	v_sub_nc_u16 v68, v92, v68
	v_add_f64 v[156:157], v[104:105], v[148:149]
	v_add_f64 v[116:117], v[104:105], -v[148:149]
	v_and_b32_e32 v181, 0xff, v68
	v_mul_u32_u24_e32 v68, 6, v181
	v_lshlrev_b32_e32 v101, 4, v68
	s_clause 0x1
	global_load_dwordx4 v[84:87], v101, s[0:1]
	global_load_dwordx4 v[80:83], v101, s[0:1] offset:16
	v_add_f64 v[146:147], v[162:163], -v[156:157]
	s_waitcnt vmcnt(1)
	v_mul_f64 v[68:69], v[95:96], v[86:87]
	v_fma_f64 v[122:123], v[93:94], v[84:85], -v[68:69]
	v_mul_f64 v[68:69], v[93:94], v[86:87]
	v_fma_f64 v[118:119], v[95:96], v[84:85], v[68:69]
	s_waitcnt vmcnt(0)
	v_mul_f64 v[68:69], v[99:100], v[82:83]
	v_fma_f64 v[126:127], v[97:98], v[80:81], -v[68:69]
	v_mul_f64 v[68:69], v[97:98], v[82:83]
	v_fma_f64 v[124:125], v[99:100], v[80:81], v[68:69]
	s_clause 0x1
	global_load_dwordx4 v[76:79], v101, s[0:1] offset:32
	global_load_dwordx4 v[68:71], v101, s[0:1] offset:48
	s_waitcnt vmcnt(1)
	v_mul_f64 v[92:93], v[134:135], v[78:79]
	v_fma_f64 v[130:131], v[132:133], v[76:77], -v[92:93]
	v_mul_f64 v[92:93], v[132:133], v[78:79]
	v_fma_f64 v[128:129], v[134:135], v[76:77], v[92:93]
	s_waitcnt vmcnt(0)
	v_mul_f64 v[92:93], v[138:139], v[70:71]
	v_fma_f64 v[134:135], v[136:137], v[68:69], -v[92:93]
	v_mul_f64 v[92:93], v[136:137], v[70:71]
	v_add_f64 v[170:171], v[130:131], v[134:135]
	v_fma_f64 v[132:133], v[138:139], v[68:69], v[92:93]
	s_clause 0x1
	global_load_dwordx4 v[92:95], v101, s[0:1] offset:64
	global_load_dwordx4 v[96:99], v101, s[0:1] offset:80
	v_add_f64 v[174:175], v[128:129], v[132:133]
	s_waitcnt vmcnt(1)
	v_mul_f64 v[100:101], v[142:143], v[94:95]
	v_fma_f64 v[138:139], v[140:141], v[92:93], -v[100:101]
	v_mul_f64 v[100:101], v[140:141], v[94:95]
	v_add_f64 v[190:191], v[126:127], v[138:139]
	v_fma_f64 v[136:137], v[142:143], v[92:93], v[100:101]
	s_waitcnt vmcnt(0) lgkmcnt(0)
	v_mul_f64 v[100:101], v[154:155], v[98:99]
	v_add_f64 v[192:193], v[124:125], v[136:137]
	v_fma_f64 v[142:143], v[152:153], v[96:97], -v[100:101]
	v_mul_f64 v[100:101], v[152:153], v[98:99]
	v_add_f64 v[152:153], v[106:107], v[150:151]
	v_add_f64 v[168:169], v[122:123], v[142:143]
	v_fma_f64 v[140:141], v[154:155], v[96:97], v[100:101]
	v_add_f64 v[154:155], v[114:115], v[120:121]
	v_add_f64 v[100:101], v[160:161], v[152:153]
	v_add_f64 v[114:115], v[120:121], -v[114:115]
	v_add_f64 v[120:121], v[106:107], -v[150:151]
	;; [unrolled: 1-line block ×5, first 2 shown]
	v_add_f64 v[172:173], v[118:119], v[140:141]
	v_add_f64 v[148:149], v[154:155], -v[160:161]
	v_add_f64 v[164:165], v[154:155], v[100:101]
	v_add_f64 v[100:101], v[162:163], v[156:157]
	v_add_f64 v[104:105], v[114:115], v[110:111]
	v_add_f64 v[108:109], v[114:115], -v[110:111]
	v_add_f64 v[160:161], v[110:111], -v[120:121]
	v_add_f64 v[110:111], v[112:113], v[106:107]
	v_add_f64 v[162:163], v[112:113], -v[106:107]
	v_add_f64 v[178:179], v[106:107], -v[116:117]
	;; [unrolled: 1-line block ×4, first 2 shown]
	v_mul_f64 v[106:107], v[150:151], s[4:5]
	v_add_f64 v[166:167], v[158:159], v[100:101]
	ds_read_b128 v[100:103], v223
	ds_read_b128 v[182:185], v223 offset:1008
	s_waitcnt lgkmcnt(0)
	s_barrier
	buffer_gl0_inv
	v_mul_f64 v[162:163], v[162:163], s[26:27]
	v_mul_f64 v[152:153], v[152:153], s[18:19]
	;; [unrolled: 1-line block ×3, first 2 shown]
	v_fma_f64 v[106:107], v[146:147], s[24:25], -v[106:107]
	v_add_f64 v[186:187], v[100:101], v[164:165]
	v_add_f64 v[100:101], v[190:191], v[168:169]
	;; [unrolled: 1-line block ×3, first 2 shown]
	v_fma_f64 v[150:151], v[150:151], s[4:5], v[154:155]
	v_fma_f64 v[146:147], v[146:147], s[20:21], -v[154:155]
	v_fma_f64 v[164:165], v[164:165], s[14:15], v[186:187]
	v_add_f64 v[176:177], v[170:171], v[100:101]
	v_add_f64 v[100:101], v[192:193], v[172:173]
	ds_write_b128 v227, v[186:189]
	v_mul_f64 v[186:187], v[108:109], s[26:27]
	v_fma_f64 v[166:167], v[166:167], s[14:15], v[188:189]
	v_add_f64 v[194:195], v[174:175], v[100:101]
	v_add_f64 v[100:101], v[182:183], v[176:177]
	;; [unrolled: 1-line block ×3, first 2 shown]
	v_add_f64 v[120:121], v[120:121], -v[114:115]
	v_mul_f64 v[114:115], v[178:179], s[12:13]
	v_mul_f64 v[104:105], v[148:149], s[4:5]
	v_fma_f64 v[148:149], v[148:149], s[4:5], v[152:153]
	v_add_f64 v[154:155], v[150:151], v[166:167]
	v_fma_f64 v[108:109], v[160:161], s[12:13], -v[186:187]
	v_add_f64 v[146:147], v[146:147], v[166:167]
	v_add_f64 v[196:197], v[106:107], v[166:167]
	;; [unrolled: 1-line block ×4, first 2 shown]
	v_add_f64 v[116:117], v[116:117], -v[112:113]
	v_mul_f64 v[112:113], v[160:161], s[12:13]
	v_fma_f64 v[104:105], v[144:145], s[24:25], -v[104:105]
	v_fma_f64 v[144:145], v[144:145], s[20:21], -v[152:153]
	v_add_f64 v[152:153], v[148:149], v[164:165]
	v_fma_f64 v[110:111], v[182:183], s[6:7], v[108:109]
	v_fma_f64 v[108:109], v[178:179], s[12:13], -v[162:163]
	v_fma_f64 v[166:167], v[194:195], s[14:15], v[102:103]
	v_fma_f64 v[114:115], v[116:117], s[22:23], -v[114:115]
	;; [unrolled: 2-line block ×3, first 2 shown]
	v_fma_f64 v[120:121], v[120:121], s[16:17], v[186:187]
	v_add_f64 v[144:145], v[144:145], v[164:165]
	v_add_f64 v[188:189], v[104:105], v[164:165]
	v_fma_f64 v[164:165], v[176:177], s[14:15], v[100:101]
	v_fma_f64 v[108:109], v[184:185], s[6:7], v[108:109]
	v_add_f64 v[106:107], v[110:111], v[196:197]
	v_add_f64 v[110:111], v[196:197], -v[110:111]
	v_fma_f64 v[158:159], v[184:185], s[6:7], v[114:115]
	v_fma_f64 v[116:117], v[184:185], s[6:7], v[116:117]
	;; [unrolled: 1-line block ×4, first 2 shown]
	v_add_f64 v[104:105], v[188:189], -v[108:109]
	v_add_f64 v[108:109], v[108:109], v[188:189]
	v_add_f64 v[112:113], v[158:159], v[144:145]
	;; [unrolled: 1-line block ×3, first 2 shown]
	v_add_f64 v[152:153], v[152:153], -v[116:117]
	v_add_f64 v[116:117], v[126:127], -v[138:139]
	;; [unrolled: 1-line block ×4, first 2 shown]
	v_add_f64 v[154:155], v[120:121], v[154:155]
	v_add_f64 v[130:131], v[122:123], -v[142:143]
	v_add_f64 v[120:121], v[124:125], -v[136:137]
	;; [unrolled: 1-line block ×6, first 2 shown]
	v_add_f64 v[146:147], v[156:157], v[146:147]
	v_add_f64 v[132:133], v[190:191], -v[168:169]
	v_add_f64 v[134:135], v[170:171], -v[190:191]
	;; [unrolled: 1-line block ×6, first 2 shown]
	ds_write_b128 v227, v[148:151] offset:144
	ds_write_b128 v227, v[112:115] offset:288
	;; [unrolled: 1-line block ×6, first 2 shown]
	v_add_f64 v[122:123], v[126:127], -v[116:117]
	v_add_f64 v[118:119], v[126:127], v[116:117]
	v_add_f64 v[140:141], v[116:117], -v[130:131]
	v_add_f64 v[142:143], v[124:125], -v[120:121]
	v_add_f64 v[116:117], v[124:125], v[120:121]
	v_add_f64 v[156:157], v[120:121], -v[128:129]
	v_add_f64 v[172:173], v[130:131], -v[126:127]
	;; [unrolled: 1-line block ×3, first 2 shown]
	v_mul_u32_u24_sdwa v104, v180, v198 dst_sel:DWORD dst_unused:UNUSED_PAD src0_sel:WORD_0 src1_sel:DWORD
	v_add_lshl_u32 v228, v104, v181, 4
	v_mul_f64 v[162:163], v[122:123], s[26:27]
	v_add_f64 v[158:159], v[118:119], v[130:131]
	v_mul_f64 v[124:125], v[140:141], s[12:13]
	v_mul_f64 v[142:143], v[142:143], s[26:27]
	v_add_f64 v[160:161], v[116:117], v[128:129]
	v_mul_f64 v[126:127], v[156:157], s[12:13]
	v_mul_f64 v[116:117], v[134:135], s[4:5]
	v_mul_f64 v[118:119], v[138:139], s[4:5]
	v_fma_f64 v[120:121], v[140:141], s[12:13], -v[162:163]
	v_mul_f64 v[140:141], v[168:169], s[18:19]
	v_fma_f64 v[124:125], v[172:173], s[22:23], -v[124:125]
	v_fma_f64 v[126:127], v[174:175], s[22:23], -v[126:127]
	;; [unrolled: 1-line block ×4, first 2 shown]
	v_fma_f64 v[122:123], v[158:159], s[6:7], v[120:121]
	v_fma_f64 v[120:121], v[156:157], s[12:13], -v[142:143]
	v_mul_f64 v[156:157], v[170:171], s[18:19]
	v_fma_f64 v[128:129], v[132:133], s[20:21], -v[140:141]
	v_fma_f64 v[132:133], v[158:159], s[6:7], v[124:125]
	v_fma_f64 v[134:135], v[134:135], s[4:5], v[140:141]
	v_add_f64 v[176:177], v[116:117], v[164:165]
	v_add_f64 v[178:179], v[118:119], v[166:167]
	v_fma_f64 v[120:121], v[160:161], s[6:7], v[120:121]
	v_fma_f64 v[130:131], v[136:137], s[20:21], -v[156:157]
	v_fma_f64 v[136:137], v[160:161], s[6:7], v[126:127]
	v_add_f64 v[128:129], v[128:129], v[164:165]
	v_fma_f64 v[138:139], v[138:139], s[4:5], v[156:157]
	v_add_f64 v[118:119], v[122:123], v[178:179]
	v_add_f64 v[122:123], v[178:179], -v[122:123]
	v_add_f64 v[116:117], v[176:177], -v[120:121]
	v_add_f64 v[130:131], v[130:131], v[166:167]
	v_add_f64 v[120:121], v[120:121], v[176:177]
	;; [unrolled: 1-line block ×3, first 2 shown]
	v_add_f64 v[128:129], v[128:129], -v[136:137]
	v_fma_f64 v[136:137], v[174:175], s[16:17], v[142:143]
	v_add_f64 v[142:143], v[134:135], v[164:165]
	v_add_f64 v[138:139], v[138:139], v[166:167]
	v_add_f64 v[126:127], v[130:131], -v[132:133]
	v_add_f64 v[130:131], v[132:133], v[130:131]
	v_fma_f64 v[132:133], v[172:173], s[16:17], v[162:163]
	v_fma_f64 v[136:137], v[160:161], s[6:7], v[136:137]
	;; [unrolled: 1-line block ×3, first 2 shown]
	v_add_f64 v[132:133], v[136:137], v[142:143]
	v_add_f64 v[136:137], v[142:143], -v[136:137]
	v_add_f64 v[134:135], v[138:139], -v[140:141]
	v_add_f64 v[138:139], v[140:141], v[138:139]
	ds_write_b128 v228, v[100:103]
	ds_write_b128 v228, v[132:135] offset:144
	ds_write_b128 v228, v[124:127] offset:288
	v_mad_u64_u32 v[124:125], null, 0x60, v224, s[0:1]
	ds_write_b128 v228, v[116:119] offset:432
	ds_write_b128 v228, v[120:123] offset:576
	;; [unrolled: 1-line block ×4, first 2 shown]
	s_waitcnt lgkmcnt(0)
	s_barrier
	buffer_gl0_inv
	s_clause 0x1
	global_load_dwordx4 v[100:103], v[124:125], off offset:864
	global_load_dwordx4 v[104:107], v[124:125], off offset:880
	ds_read_b128 v[108:111], v223 offset:2016
	ds_read_b128 v[126:129], v223 offset:3024
	s_waitcnt vmcnt(1) lgkmcnt(1)
	v_mul_f64 v[112:113], v[110:111], v[102:103]
	v_fma_f64 v[154:155], v[108:109], v[100:101], -v[112:113]
	v_mul_f64 v[108:109], v[108:109], v[102:103]
	v_fma_f64 v[156:157], v[110:111], v[100:101], v[108:109]
	ds_read_b128 v[108:111], v223 offset:4032
	ds_read_b128 v[130:133], v223 offset:5040
	s_waitcnt vmcnt(0) lgkmcnt(1)
	v_mul_f64 v[112:113], v[110:111], v[106:107]
	v_fma_f64 v[158:159], v[108:109], v[104:105], -v[112:113]
	v_mul_f64 v[108:109], v[108:109], v[106:107]
	v_fma_f64 v[160:161], v[110:111], v[104:105], v[108:109]
	s_clause 0x1
	global_load_dwordx4 v[112:115], v[124:125], off offset:896
	global_load_dwordx4 v[108:111], v[124:125], off offset:912
	ds_read_b128 v[116:119], v223 offset:6048
	ds_read_b128 v[134:137], v223 offset:7056
	s_waitcnt vmcnt(1) lgkmcnt(1)
	v_mul_f64 v[120:121], v[118:119], v[114:115]
	v_fma_f64 v[162:163], v[116:117], v[112:113], -v[120:121]
	v_mul_f64 v[116:117], v[116:117], v[114:115]
	v_fma_f64 v[164:165], v[118:119], v[112:113], v[116:117]
	ds_read_b128 v[116:119], v223 offset:8064
	ds_read_b128 v[138:141], v223 offset:9072
	s_waitcnt vmcnt(0) lgkmcnt(1)
	v_mul_f64 v[120:121], v[118:119], v[110:111]
	v_fma_f64 v[166:167], v[116:117], v[108:109], -v[120:121]
	v_mul_f64 v[116:117], v[116:117], v[110:111]
	v_fma_f64 v[168:169], v[118:119], v[108:109], v[116:117]
	;; [unrolled: 17-line block ×3, first 2 shown]
	v_mul_f64 v[144:145], v[128:129], v[102:103]
	v_fma_f64 v[176:177], v[126:127], v[100:101], -v[144:145]
	v_mul_f64 v[126:127], v[126:127], v[102:103]
	v_add_f64 v[144:145], v[154:155], v[174:175]
	v_add_f64 v[154:155], v[154:155], -v[174:175]
	v_fma_f64 v[178:179], v[128:129], v[100:101], v[126:127]
	v_mul_f64 v[126:127], v[132:133], v[106:107]
	v_fma_f64 v[180:181], v[130:131], v[104:105], -v[126:127]
	v_mul_f64 v[126:127], v[130:131], v[106:107]
	v_fma_f64 v[182:183], v[132:133], v[104:105], v[126:127]
	v_mul_f64 v[126:127], v[136:137], v[114:115]
	v_fma_f64 v[184:185], v[134:135], v[112:113], -v[126:127]
	v_mul_f64 v[126:127], v[134:135], v[114:115]
	v_add_f64 v[134:135], v[158:159], v[170:171]
	v_fma_f64 v[186:187], v[136:137], v[112:113], v[126:127]
	v_mul_f64 v[126:127], v[140:141], v[110:111]
	v_fma_f64 v[188:189], v[138:139], v[108:109], -v[126:127]
	v_mul_f64 v[126:127], v[138:139], v[110:111]
	v_add_f64 v[138:139], v[160:161], v[172:173]
	v_add_f64 v[160:161], v[160:161], -v[172:173]
	v_add_f64 v[204:205], v[184:185], v[188:189]
	v_fma_f64 v[190:191], v[140:141], v[108:109], v[126:127]
	v_mul_f64 v[126:127], v[148:149], v[118:119]
	v_add_f64 v[229:230], v[186:187], v[190:191]
	v_fma_f64 v[192:193], v[146:147], v[116:117], -v[126:127]
	v_mul_f64 v[126:127], v[146:147], v[118:119]
	v_add_f64 v[146:147], v[162:163], v[166:167]
	v_add_f64 v[202:203], v[180:181], v[192:193]
	v_fma_f64 v[194:195], v[148:149], v[116:117], v[126:127]
	s_waitcnt lgkmcnt(0)
	v_mul_f64 v[126:127], v[152:153], v[122:123]
	v_add_f64 v[148:149], v[156:157], v[142:143]
	v_add_f64 v[142:143], v[156:157], -v[142:143]
	v_add_f64 v[156:157], v[134:135], -v[144:145]
	v_add_f64 v[220:221], v[182:183], v[194:195]
	v_fma_f64 v[196:197], v[150:151], v[120:121], -v[126:127]
	v_mul_f64 v[126:127], v[150:151], v[122:123]
	v_add_f64 v[150:151], v[164:165], v[168:169]
	v_add_f64 v[200:201], v[176:177], v[196:197]
	v_fma_f64 v[198:199], v[152:153], v[120:121], v[126:127]
	v_add_f64 v[126:127], v[134:135], v[144:145]
	v_add_f64 v[144:145], v[144:145], -v[146:147]
	v_add_f64 v[152:153], v[202:203], v[200:201]
	v_add_f64 v[218:219], v[178:179], v[198:199]
	;; [unrolled: 1-line block ×7, first 2 shown]
	ds_read_b128 v[126:129], v223
	ds_read_b128 v[130:133], v223 offset:1008
	s_waitcnt lgkmcnt(0)
	s_barrier
	buffer_gl0_inv
	v_add_f64 v[231:232], v[229:230], v[152:153]
	v_add_f64 v[152:153], v[158:159], -v[170:171]
	v_add_f64 v[158:159], v[166:167], -v[162:163]
	;; [unrolled: 1-line block ×7, first 2 shown]
	v_add_f64 v[126:127], v[126:127], v[136:137]
	v_add_f64 v[128:129], v[128:129], v[140:141]
	;; [unrolled: 1-line block ×5, first 2 shown]
	v_add_f64 v[138:139], v[158:159], -v[152:153]
	v_add_f64 v[152:153], v[152:153], -v[154:155]
	v_add_f64 v[170:171], v[162:163], v[160:161]
	v_add_f64 v[172:173], v[162:163], -v[160:161]
	v_add_f64 v[160:161], v[160:161], -v[142:143]
	;; [unrolled: 1-line block ×3, first 2 shown]
	v_mul_f64 v[158:159], v[146:147], s[18:19]
	v_fma_f64 v[235:236], v[136:137], s[14:15], v[126:127]
	v_fma_f64 v[237:238], v[140:141], s[14:15], v[128:129]
	v_add_f64 v[174:175], v[134:135], v[154:155]
	v_mul_f64 v[233:234], v[138:139], s[26:27]
	v_add_f64 v[154:155], v[142:143], -v[162:163]
	v_add_f64 v[170:171], v[170:171], v[142:143]
	v_mul_f64 v[142:143], v[152:153], s[12:13]
	v_mul_f64 v[148:149], v[160:161], s[12:13]
	;; [unrolled: 1-line block ×5, first 2 shown]
	v_fma_f64 v[136:137], v[152:153], s[12:13], -v[233:234]
	v_mul_f64 v[152:153], v[144:145], s[18:19]
	v_fma_f64 v[142:143], v[150:151], s[22:23], -v[142:143]
	v_fma_f64 v[144:145], v[154:155], s[22:23], -v[148:149]
	;; [unrolled: 1-line block ×4, first 2 shown]
	v_fma_f64 v[150:151], v[150:151], s[16:17], v[233:234]
	v_fma_f64 v[154:155], v[154:155], s[16:17], v[172:173]
	v_fma_f64 v[138:139], v[166:167], s[24:25], -v[138:139]
	v_add_f64 v[166:167], v[188:189], -v[184:185]
	v_fma_f64 v[140:141], v[174:175], s[6:7], v[136:137]
	v_fma_f64 v[146:147], v[156:157], s[20:21], -v[152:153]
	v_fma_f64 v[136:137], v[160:161], s[12:13], -v[172:173]
	v_fma_f64 v[156:157], v[174:175], s[6:7], v[142:143]
	v_fma_f64 v[160:161], v[170:171], s[6:7], v[144:145]
	v_add_f64 v[148:149], v[148:149], v[237:238]
	v_fma_f64 v[152:153], v[164:165], s[4:5], v[152:153]
	v_add_f64 v[172:173], v[178:179], -v[198:199]
	v_fma_f64 v[154:155], v[170:171], s[6:7], v[154:155]
	v_add_f64 v[178:179], v[220:221], -v[218:219]
	v_add_f64 v[241:242], v[134:135], v[235:236]
	v_add_f64 v[243:244], v[138:139], v[237:238]
	;; [unrolled: 1-line block ×3, first 2 shown]
	v_fma_f64 v[239:240], v[170:171], s[6:7], v[136:137]
	v_add_f64 v[170:171], v[190:191], -v[186:187]
	v_add_f64 v[144:145], v[148:149], -v[156:157]
	v_add_f64 v[148:149], v[156:157], v[148:149]
	v_fma_f64 v[156:157], v[168:169], s[4:5], v[158:159]
	v_fma_f64 v[158:159], v[174:175], s[6:7], v[150:151]
	v_add_f64 v[168:169], v[176:177], -v[196:197]
	v_add_f64 v[176:177], v[204:205], -v[202:203]
	;; [unrolled: 1-line block ×3, first 2 shown]
	v_fma_f64 v[196:197], v[231:232], s[14:15], v[132:133]
	v_add_f64 v[136:137], v[140:141], v[243:244]
	v_add_f64 v[140:141], v[243:244], -v[140:141]
	v_add_f64 v[142:143], v[160:161], v[146:147]
	v_add_f64 v[146:147], v[146:147], -v[160:161]
	v_add_f64 v[160:161], v[152:153], v[235:236]
	v_add_f64 v[134:135], v[241:242], -v[239:240]
	v_add_f64 v[138:139], v[239:240], v[241:242]
	v_add_f64 v[156:157], v[156:157], v[237:238]
	;; [unrolled: 1-line block ×3, first 2 shown]
	v_add_f64 v[154:155], v[160:161], -v[154:155]
	v_add_f64 v[160:161], v[182:183], -v[194:195]
	v_fma_f64 v[194:195], v[206:207], s[14:15], v[130:131]
	v_add_f64 v[152:153], v[156:157], -v[158:159]
	v_add_f64 v[156:157], v[158:159], v[156:157]
	v_add_f64 v[158:159], v[180:181], -v[192:193]
	v_add_f64 v[180:181], v[229:230], -v[220:221]
	v_add_f64 v[184:185], v[170:171], -v[160:161]
	v_add_f64 v[186:187], v[160:161], -v[172:173]
	v_add_f64 v[164:165], v[166:167], -v[158:159]
	v_add_f64 v[162:163], v[166:167], v[158:159]
	v_add_f64 v[182:183], v[158:159], -v[168:169]
	v_add_f64 v[158:159], v[170:171], v[160:161]
	v_mul_f64 v[160:161], v[180:181], s[4:5]
	v_mul_f64 v[184:185], v[184:185], s[26:27]
	;; [unrolled: 1-line block ×3, first 2 shown]
	v_add_f64 v[188:189], v[162:163], v[168:169]
	v_add_f64 v[190:191], v[158:159], v[172:173]
	v_mul_f64 v[158:159], v[176:177], s[4:5]
	v_fma_f64 v[160:161], v[178:179], s[24:25], -v[160:161]
	v_fma_f64 v[162:163], v[182:183], s[12:13], -v[192:193]
	;; [unrolled: 1-line block ×3, first 2 shown]
	v_add_f64 v[202:203], v[160:161], v[196:197]
	v_fma_f64 v[164:165], v[188:189], s[6:7], v[162:163]
	v_fma_f64 v[162:163], v[186:187], s[12:13], -v[184:185]
	v_add_f64 v[198:199], v[158:159], v[194:195]
	v_add_f64 v[160:161], v[164:165], v[202:203]
	v_fma_f64 v[162:163], v[190:191], s[6:7], v[162:163]
	v_add_f64 v[164:165], v[202:203], -v[164:165]
	v_add_f64 v[202:203], v[168:169], -v[166:167]
	v_mul_f64 v[166:167], v[182:183], s[12:13]
	v_mul_f64 v[168:169], v[186:187], s[12:13]
	v_add_f64 v[158:159], v[198:199], -v[162:163]
	v_add_f64 v[162:163], v[162:163], v[198:199]
	v_add_f64 v[198:199], v[200:201], -v[204:205]
	v_add_f64 v[200:201], v[218:219], -v[229:230]
	;; [unrolled: 1-line block ×3, first 2 shown]
	v_fma_f64 v[166:167], v[202:203], s[22:23], -v[166:167]
	v_mul_f64 v[182:183], v[198:199], s[18:19]
	v_mul_f64 v[186:187], v[200:201], s[18:19]
	v_fma_f64 v[168:169], v[204:205], s[22:23], -v[168:169]
	v_fma_f64 v[170:171], v[174:175], s[20:21], -v[182:183]
	;; [unrolled: 1-line block ×3, first 2 shown]
	v_fma_f64 v[174:175], v[188:189], s[6:7], v[166:167]
	v_fma_f64 v[178:179], v[190:191], s[6:7], v[168:169]
	;; [unrolled: 1-line block ×4, first 2 shown]
	v_add_f64 v[170:171], v[170:171], v[194:195]
	v_add_f64 v[172:173], v[172:173], v[196:197]
	;; [unrolled: 1-line block ×4, first 2 shown]
	v_add_f64 v[168:169], v[172:173], -v[174:175]
	v_add_f64 v[170:171], v[170:171], -v[178:179]
	v_add_f64 v[172:173], v[174:175], v[172:173]
	v_fma_f64 v[174:175], v[202:203], s[16:17], v[192:193]
	v_fma_f64 v[178:179], v[204:205], s[16:17], v[184:185]
	v_add_f64 v[184:185], v[176:177], v[194:195]
	v_fma_f64 v[182:183], v[188:189], s[6:7], v[174:175]
	v_fma_f64 v[178:179], v[190:191], s[6:7], v[178:179]
	v_add_f64 v[176:177], v[180:181], -v[182:183]
	v_add_f64 v[174:175], v[178:179], v[184:185]
	v_add_f64 v[178:179], v[184:185], -v[178:179]
	v_add_f64 v[180:181], v[182:183], v[180:181]
	ds_write_b128 v223, v[126:129]
	ds_write_b128 v223, v[130:133] offset:7056
	ds_write_b128 v223, v[150:153] offset:1008
	;; [unrolled: 1-line block ×13, first 2 shown]
	v_mul_i32_i24_e32 v126, 0xffffffb0, v224
	v_mul_hi_i32_i24_e32 v127, 0xffffffb0, v224
	s_waitcnt lgkmcnt(0)
	s_barrier
	buffer_gl0_inv
	v_add_co_u32 v158, s0, v124, v126
	v_add_co_ci_u32_e64 v159, s0, v125, v127, s0
	v_add_co_u32 v128, s0, 0x1800, v158
	v_add_co_ci_u32_e64 v129, s0, 0, v159, s0
	s_clause 0x1
	global_load_dwordx4 v[124:127], v[128:129], off offset:768
	global_load_dwordx4 v[128:131], v[128:129], off offset:1776
	ds_read_b128 v[132:135], v223 offset:7056
	ds_read_b128 v[160:163], v223 offset:6048
	s_waitcnt vmcnt(1) lgkmcnt(1)
	v_mul_f64 v[136:137], v[134:135], v[126:127]
	v_fma_f64 v[164:165], v[132:133], v[124:125], -v[136:137]
	v_mul_f64 v[132:133], v[132:133], v[126:127]
	v_fma_f64 v[166:167], v[134:135], v[124:125], v[132:133]
	ds_read_b128 v[132:135], v223 offset:8064
	ds_read_b128 v[140:143], v223 offset:9072
	s_waitcnt vmcnt(0) lgkmcnt(1)
	v_mul_f64 v[136:137], v[134:135], v[130:131]
	v_fma_f64 v[168:169], v[132:133], v[128:129], -v[136:137]
	v_mul_f64 v[132:133], v[132:133], v[130:131]
	v_fma_f64 v[170:171], v[134:135], v[128:129], v[132:133]
	v_add_co_u32 v132, s0, 0x2000, v158
	v_add_co_ci_u32_e64 v133, s0, 0, v159, s0
	s_clause 0x1
	global_load_dwordx4 v[136:139], v[132:133], off offset:736
	global_load_dwordx4 v[132:135], v[132:133], off offset:1744
	s_waitcnt vmcnt(1) lgkmcnt(0)
	v_mul_f64 v[144:145], v[142:143], v[138:139]
	v_fma_f64 v[188:189], v[140:141], v[136:137], -v[144:145]
	v_mul_f64 v[140:141], v[140:141], v[138:139]
	v_fma_f64 v[190:191], v[142:143], v[136:137], v[140:141]
	ds_read_b128 v[140:143], v223 offset:10080
	ds_read_b128 v[148:151], v223 offset:11088
	s_waitcnt vmcnt(0) lgkmcnt(1)
	v_mul_f64 v[144:145], v[142:143], v[134:135]
	v_fma_f64 v[196:197], v[140:141], v[132:133], -v[144:145]
	v_mul_f64 v[140:141], v[140:141], v[134:135]
	v_fma_f64 v[198:199], v[142:143], v[132:133], v[140:141]
	v_add_co_u32 v140, s0, 0x2800, v158
	v_add_co_ci_u32_e64 v141, s0, 0, v159, s0
	s_clause 0x1
	global_load_dwordx4 v[144:147], v[140:141], off offset:704
	global_load_dwordx4 v[140:143], v[140:141], off offset:1712
	s_waitcnt vmcnt(1) lgkmcnt(0)
	v_mul_f64 v[152:153], v[150:151], v[146:147]
	v_fma_f64 v[204:205], v[148:149], v[144:145], -v[152:153]
	v_mul_f64 v[148:149], v[148:149], v[146:147]
	v_fma_f64 v[206:207], v[150:151], v[144:145], v[148:149]
	ds_read_b128 v[148:151], v223 offset:12096
	ds_read_b128 v[152:155], v223 offset:13104
	s_waitcnt vmcnt(0) lgkmcnt(1)
	v_mul_f64 v[156:157], v[150:151], v[142:143]
	v_fma_f64 v[218:219], v[148:149], v[140:141], -v[156:157]
	v_mul_f64 v[148:149], v[148:149], v[142:143]
	v_fma_f64 v[220:221], v[150:151], v[140:141], v[148:149]
	v_add_co_u32 v148, s0, 0x3000, v158
	v_add_co_ci_u32_e64 v149, s0, 0, v159, s0
	global_load_dwordx4 v[148:151], v[148:149], off offset:672
	s_waitcnt vmcnt(0) lgkmcnt(0)
	v_mul_f64 v[156:157], v[154:155], v[150:151]
	v_fma_f64 v[229:230], v[152:153], v[148:149], -v[156:157]
	v_mul_f64 v[152:153], v[152:153], v[150:151]
	v_fma_f64 v[231:232], v[154:155], v[148:149], v[152:153]
	ds_read_b128 v[152:155], v223
	ds_read_b128 v[156:159], v223 offset:1008
	s_waitcnt lgkmcnt(1)
	v_add_f64 v[172:173], v[152:153], -v[164:165]
	v_add_f64 v[174:175], v[154:155], -v[166:167]
	s_waitcnt lgkmcnt(0)
	v_add_f64 v[180:181], v[156:157], -v[168:169]
	v_add_f64 v[182:183], v[158:159], -v[170:171]
	v_fma_f64 v[176:177], v[152:153], 2.0, -v[172:173]
	v_fma_f64 v[178:179], v[154:155], 2.0, -v[174:175]
	;; [unrolled: 1-line block ×4, first 2 shown]
	ds_read_b128 v[152:155], v223 offset:2016
	ds_read_b128 v[156:159], v223 offset:3024
	s_waitcnt lgkmcnt(1)
	v_add_f64 v[188:189], v[152:153], -v[188:189]
	s_waitcnt lgkmcnt(0)
	v_add_f64 v[196:197], v[156:157], -v[196:197]
	v_add_f64 v[198:199], v[158:159], -v[198:199]
	;; [unrolled: 1-line block ×3, first 2 shown]
	v_fma_f64 v[192:193], v[152:153], 2.0, -v[188:189]
	v_fma_f64 v[200:201], v[156:157], 2.0, -v[196:197]
	;; [unrolled: 1-line block ×3, first 2 shown]
	ds_read_b128 v[156:159], v223 offset:4032
	ds_read_b128 v[164:167], v223 offset:5040
	v_fma_f64 v[194:195], v[154:155], 2.0, -v[190:191]
	s_waitcnt lgkmcnt(1)
	v_add_f64 v[152:153], v[156:157], -v[204:205]
	v_add_f64 v[154:155], v[158:159], -v[206:207]
	s_waitcnt lgkmcnt(0)
	v_add_f64 v[168:169], v[164:165], -v[218:219]
	v_add_f64 v[170:171], v[166:167], -v[220:221]
	v_fma_f64 v[204:205], v[156:157], 2.0, -v[152:153]
	v_fma_f64 v[206:207], v[158:159], 2.0, -v[154:155]
	v_add_f64 v[156:157], v[160:161], -v[229:230]
	v_add_f64 v[158:159], v[162:163], -v[231:232]
	v_fma_f64 v[164:165], v[164:165], 2.0, -v[168:169]
	v_fma_f64 v[166:167], v[166:167], 2.0, -v[170:171]
	;; [unrolled: 1-line block ×4, first 2 shown]
	ds_write_b128 v223, v[172:175] offset:7056
	ds_write_b128 v223, v[180:183] offset:8064
	;; [unrolled: 1-line block ×4, first 2 shown]
	ds_write_b128 v223, v[176:179]
	ds_write_b128 v223, v[184:187] offset:1008
	ds_write_b128 v223, v[192:195] offset:2016
	;; [unrolled: 1-line block ×9, first 2 shown]
	s_waitcnt lgkmcnt(0)
	s_barrier
	buffer_gl0_inv
	s_clause 0x1
	buffer_load_dword v172, off, s[28:31], 0
	buffer_load_dword v173, off, s[28:31], 0 offset:4
	s_waitcnt vmcnt(0)
	global_load_dwordx4 v[172:175], v[172:173], off offset:1824
	ds_read_b128 v[176:179], v223
	ds_read_b128 v[180:183], v223 offset:1568
	s_waitcnt vmcnt(0) lgkmcnt(1)
	v_mul_f64 v[184:185], v[178:179], v[174:175]
	v_mul_f64 v[186:187], v[176:177], v[174:175]
	v_fma_f64 v[174:175], v[176:177], v[172:173], -v[184:185]
	v_fma_f64 v[176:177], v[178:179], v[172:173], v[186:187]
	v_add_co_u32 v178, s0, 0x4000, v216
	v_add_co_ci_u32_e64 v179, s0, 0, v217, s0
	v_add_co_u32 v172, s0, 0x3720, v216
	v_add_co_ci_u32_e64 v173, s0, 0, v217, s0
	s_clause 0x1
	global_load_dwordx4 v[184:187], v[178:179], off offset:864
	global_load_dwordx4 v[188:191], v[172:173], off offset:1568
	s_waitcnt vmcnt(0) lgkmcnt(0)
	v_mul_f64 v[178:179], v[182:183], v[190:191]
	v_mul_f64 v[190:191], v[180:181], v[190:191]
	v_fma_f64 v[178:179], v[180:181], v[188:189], -v[178:179]
	v_fma_f64 v[180:181], v[182:183], v[188:189], v[190:191]
	ds_read_b128 v[188:191], v223 offset:3136
	ds_read_b128 v[192:195], v223 offset:4704
	s_waitcnt lgkmcnt(1)
	v_mul_f64 v[182:183], v[190:191], v[186:187]
	v_mul_f64 v[186:187], v[188:189], v[186:187]
	v_fma_f64 v[182:183], v[188:189], v[184:185], -v[182:183]
	v_fma_f64 v[184:185], v[190:191], v[184:185], v[186:187]
	v_add_co_u32 v190, s0, 0x4800, v216
	v_add_co_ci_u32_e64 v191, s0, 0, v217, s0
	s_clause 0x1
	global_load_dwordx4 v[186:189], v[190:191], off offset:384
	global_load_dwordx4 v[196:199], v[190:191], off offset:1952
	s_waitcnt vmcnt(1) lgkmcnt(0)
	v_mul_f64 v[190:191], v[194:195], v[188:189]
	v_mul_f64 v[200:201], v[192:193], v[188:189]
	v_fma_f64 v[188:189], v[192:193], v[186:187], -v[190:191]
	v_fma_f64 v[190:191], v[194:195], v[186:187], v[200:201]
	ds_read_b128 v[192:195], v223 offset:6272
	ds_read_b128 v[200:203], v223 offset:7840
	s_waitcnt vmcnt(0) lgkmcnt(1)
	v_mul_f64 v[186:187], v[194:195], v[198:199]
	v_mul_f64 v[198:199], v[192:193], v[198:199]
	v_fma_f64 v[192:193], v[192:193], v[196:197], -v[186:187]
	v_add_co_u32 v186, s0, 0x5000, v216
	v_add_co_ci_u32_e64 v187, s0, 0, v217, s0
	v_add_co_u32 v204, s0, 0x5800, v216
	v_add_co_ci_u32_e64 v205, s0, 0, v217, s0
	v_fma_f64 v[194:195], v[194:195], v[196:197], v[198:199]
	s_clause 0x1
	global_load_dwordx4 v[196:199], v[186:187], off offset:1472
	global_load_dwordx4 v[204:207], v[204:205], off offset:992
	ds_read_b128 v[229:232], v223 offset:9408
	ds_read_b128 v[233:236], v223 offset:10976
	s_waitcnt vmcnt(1) lgkmcnt(2)
	v_mul_f64 v[186:187], v[202:203], v[198:199]
	v_mul_f64 v[218:219], v[200:201], v[198:199]
	v_fma_f64 v[198:199], v[200:201], v[196:197], -v[186:187]
	s_waitcnt vmcnt(0) lgkmcnt(1)
	v_mul_f64 v[186:187], v[231:232], v[206:207]
	v_fma_f64 v[200:201], v[202:203], v[196:197], v[218:219]
	v_mul_f64 v[196:197], v[229:230], v[206:207]
	v_fma_f64 v[202:203], v[229:230], v[204:205], -v[186:187]
	v_add_co_u32 v186, s0, 0x6000, v216
	v_add_co_ci_u32_e64 v187, s0, 0, v217, s0
	v_fma_f64 v[204:205], v[231:232], v[204:205], v[196:197]
	v_add_co_u32 v196, s0, 0x6800, v216
	v_add_co_ci_u32_e64 v197, s0, 0, v217, s0
	s_clause 0x1
	global_load_dwordx4 v[229:232], v[186:187], off offset:512
	global_load_dwordx4 v[237:240], v[196:197], off offset:32
	ds_read_b128 v[241:244], v223 offset:12544
	s_waitcnt vmcnt(1) lgkmcnt(1)
	v_mul_f64 v[186:187], v[235:236], v[231:232]
	v_mul_f64 v[196:197], v[233:234], v[231:232]
	v_fma_f64 v[231:232], v[233:234], v[229:230], -v[186:187]
	v_fma_f64 v[233:234], v[235:236], v[229:230], v[196:197]
	s_waitcnt vmcnt(0) lgkmcnt(0)
	v_mul_f64 v[186:187], v[243:244], v[239:240]
	v_mul_f64 v[196:197], v[241:242], v[239:240]
	v_fma_f64 v[235:236], v[241:242], v[237:238], -v[186:187]
	v_fma_f64 v[237:238], v[243:244], v[237:238], v[196:197]
	ds_write_b128 v223, v[174:177]
	ds_write_b128 v223, v[178:181] offset:1568
	ds_write_b128 v223, v[182:185] offset:3136
	ds_write_b128 v223, v[188:191] offset:4704
	ds_write_b128 v223, v[192:195] offset:6272
	ds_write_b128 v223, v[198:201] offset:7840
	ds_write_b128 v223, v[202:205] offset:9408
	ds_write_b128 v223, v[231:234] offset:10976
	ds_write_b128 v223, v[235:238] offset:12544
	s_and_saveexec_b32 s1, vcc_lo
	s_cbranch_execz .LBB0_9
; %bb.8:
	v_add_co_u32 v178, s0, 0x800, v172
	v_add_co_ci_u32_e64 v179, s0, 0, v173, s0
	v_add_co_u32 v186, s0, 0x1000, v172
	v_add_co_ci_u32_e64 v187, s0, 0, v173, s0
	s_clause 0x3
	global_load_dwordx4 v[174:177], v[172:173], off offset:1008
	global_load_dwordx4 v[178:181], v[178:179], off offset:528
	;; [unrolled: 1-line block ×4, first 2 shown]
	v_add_co_u32 v190, s0, 0x1800, v172
	v_add_co_ci_u32_e64 v191, s0, 0, v173, s0
	v_add_co_u32 v194, s0, 0x2000, v172
	v_add_co_ci_u32_e64 v195, s0, 0, v173, s0
	global_load_dwordx4 v[190:193], v[190:191], off offset:1136
	v_add_co_u32 v202, s0, 0x2800, v172
	v_add_co_ci_u32_e64 v203, s0, 0, v173, s0
	v_add_co_u32 v172, s0, 0x3000, v172
	v_add_co_ci_u32_e64 v173, s0, 0, v173, s0
	s_clause 0x3
	global_load_dwordx4 v[194:197], v[194:195], off offset:656
	global_load_dwordx4 v[198:201], v[202:203], off offset:176
	;; [unrolled: 1-line block ×4, first 2 shown]
	ds_read_b128 v[233:236], v223 offset:1008
	ds_read_b128 v[237:240], v223 offset:2576
	;; [unrolled: 1-line block ×6, first 2 shown]
	s_waitcnt vmcnt(8) lgkmcnt(5)
	v_mul_f64 v[172:173], v[235:236], v[176:177]
	v_mul_f64 v[176:177], v[233:234], v[176:177]
	s_waitcnt vmcnt(7) lgkmcnt(4)
	v_mul_f64 v[206:207], v[239:240], v[180:181]
	v_mul_f64 v[180:181], v[237:238], v[180:181]
	;; [unrolled: 3-line block ×4, first 2 shown]
	v_fma_f64 v[172:173], v[233:234], v[174:175], -v[172:173]
	v_fma_f64 v[174:175], v[235:236], v[174:175], v[176:177]
	v_fma_f64 v[176:177], v[237:238], v[178:179], -v[206:207]
	s_waitcnt vmcnt(4) lgkmcnt(1)
	v_mul_f64 v[206:207], v[251:252], v[192:193]
	v_fma_f64 v[178:179], v[239:240], v[178:179], v[180:181]
	ds_read_b128 v[233:236], v223 offset:10416
	ds_read_b128 v[237:240], v223 offset:11984
	v_fma_f64 v[180:181], v[241:242], v[182:183], -v[253:254]
	v_fma_f64 v[182:183], v[243:244], v[182:183], v[184:185]
	ds_read_b128 v[241:244], v223 offset:13552
	v_mul_f64 v[192:193], v[249:250], v[192:193]
	s_waitcnt vmcnt(3) lgkmcnt(3)
	v_mul_f64 v[253:254], v[220:221], v[196:197]
	v_mul_f64 v[196:197], v[218:219], v[196:197]
	v_fma_f64 v[184:185], v[245:246], v[186:187], -v[208:209]
	v_fma_f64 v[186:187], v[247:248], v[186:187], v[188:189]
	s_waitcnt vmcnt(2) lgkmcnt(2)
	v_mul_f64 v[208:209], v[235:236], v[200:201]
	v_mul_f64 v[200:201], v[233:234], v[200:201]
	s_waitcnt vmcnt(1) lgkmcnt(1)
	v_mul_f64 v[245:246], v[239:240], v[204:205]
	v_mul_f64 v[204:205], v[237:238], v[204:205]
	v_fma_f64 v[188:189], v[249:250], v[190:191], -v[206:207]
	s_waitcnt vmcnt(0) lgkmcnt(0)
	v_mul_f64 v[206:207], v[243:244], v[231:232]
	v_mul_f64 v[231:232], v[241:242], v[231:232]
	v_fma_f64 v[190:191], v[251:252], v[190:191], v[192:193]
	v_fma_f64 v[192:193], v[218:219], v[194:195], -v[253:254]
	v_fma_f64 v[194:195], v[220:221], v[194:195], v[196:197]
	v_fma_f64 v[196:197], v[233:234], v[198:199], -v[208:209]
	;; [unrolled: 2-line block ×4, first 2 shown]
	v_fma_f64 v[206:207], v[243:244], v[229:230], v[231:232]
	ds_write_b128 v223, v[172:175] offset:1008
	ds_write_b128 v223, v[176:179] offset:2576
	;; [unrolled: 1-line block ×9, first 2 shown]
.LBB0_9:
	s_or_b32 exec_lo, exec_lo, s1
	s_waitcnt lgkmcnt(0)
	s_barrier
	buffer_gl0_inv
	ds_read_b128 v[172:175], v223
	ds_read_b128 v[196:199], v223 offset:1568
	ds_read_b128 v[192:195], v223 offset:3136
	;; [unrolled: 1-line block ×8, first 2 shown]
	s_and_saveexec_b32 s0, vcc_lo
	s_cbranch_execz .LBB0_11
; %bb.10:
	ds_read_b128 v[152:155], v223 offset:1008
	ds_read_b128 v[164:167], v223 offset:2576
	ds_read_b128 v[168:171], v223 offset:4144
	ds_read_b128 v[160:163], v223 offset:5712
	ds_read_b128 v[156:159], v223 offset:7280
	ds_read_b128 v[60:63], v223 offset:8848
	ds_read_b128 v[64:67], v223 offset:10416
	ds_read_b128 v[72:75], v223 offset:11984
	ds_read_b128 v[88:91], v223 offset:13552
.LBB0_11:
	s_or_b32 exec_lo, exec_lo, s0
	s_waitcnt lgkmcnt(0)
	v_add_f64 v[208:209], v[196:197], v[204:205]
	v_add_f64 v[220:221], v[192:193], v[200:201]
	;; [unrolled: 1-line block ×6, first 2 shown]
	v_add_f64 v[196:197], v[196:197], -v[204:205]
	v_add_f64 v[204:205], v[180:181], -v[176:177]
	;; [unrolled: 1-line block ×5, first 2 shown]
	v_add_f64 v[200:201], v[180:181], v[176:177]
	v_add_f64 v[194:195], v[194:195], -v[202:203]
	v_add_f64 v[202:203], v[182:183], v[178:179]
	s_mov_b32 s4, 0x523c161c
	s_mov_b32 s6, 0x8c811c17
	;; [unrolled: 1-line block ×8, first 2 shown]
	v_add_f64 v[184:185], v[184:185], -v[188:189]
	v_add_f64 v[235:236], v[220:221], v[208:209]
	v_fma_f64 v[210:211], v[208:209], s[16:17], v[172:173]
	v_add_f64 v[237:238], v[229:230], v[218:219]
	v_add_f64 v[186:187], v[186:187], -v[190:191]
	v_fma_f64 v[190:191], v[220:221], s[16:17], v[172:173]
	v_mul_f64 v[243:244], v[196:197], s[4:5]
	v_mul_f64 v[245:246], v[204:205], s[0:1]
	v_mul_f64 v[247:248], v[204:205], s[6:7]
	v_mul_f64 v[249:250], v[198:199], s[4:5]
	v_mul_f64 v[251:252], v[206:207], s[0:1]
	v_mul_f64 v[253:254], v[206:207], s[6:7]
	v_fma_f64 v[188:189], v[200:201], s[16:17], v[172:173]
	v_fma_f64 v[212:213], v[229:230], s[16:17], v[174:175]
	;; [unrolled: 1-line block ×3, first 2 shown]
	s_mov_b32 s22, 0x7e0b738b
	s_mov_b32 s23, 0x3fc63a1a
	;; [unrolled: 1-line block ×8, first 2 shown]
	v_add_f64 v[239:240], v[231:232], v[235:236]
	v_fma_f64 v[210:211], v[220:221], s[22:23], v[210:211]
	v_add_f64 v[241:242], v[233:234], v[237:238]
	v_add_f64 v[235:236], v[200:201], v[235:236]
	v_fma_f64 v[190:191], v[200:201], s[22:23], v[190:191]
	v_add_f64 v[237:238], v[202:203], v[237:238]
	s_mov_b32 s21, 0xbfee11f6
	s_mov_b32 s19, 0x3fd5e3a8
	s_barrier
	buffer_gl0_inv
	v_fma_f64 v[188:189], v[208:209], s[22:23], v[188:189]
	v_fma_f64 v[212:213], v[202:203], s[22:23], v[212:213]
	;; [unrolled: 1-line block ×3, first 2 shown]
	v_add_f64 v[239:240], v[180:181], v[239:240]
	v_fma_f64 v[180:181], v[218:219], s[16:17], v[174:175]
	v_add_f64 v[182:183], v[182:183], v[241:242]
	v_fma_f64 v[241:242], v[192:193], s[6:7], v[243:244]
	v_fma_f64 v[243:244], v[196:197], s[6:7], v[245:246]
	v_fma_f64 v[245:246], v[192:193], s[0:1], -v[247:248]
	v_fma_f64 v[247:248], v[194:195], s[6:7], v[249:250]
	v_fma_f64 v[249:250], v[198:199], s[6:7], v[251:252]
	v_fma_f64 v[251:252], v[194:195], s[0:1], -v[253:254]
	v_add_f64 v[253:254], v[172:173], v[231:232]
	v_fma_f64 v[210:211], v[231:232], -0.5, v[210:211]
	v_fma_f64 v[188:189], v[231:232], -0.5, v[188:189]
	;; [unrolled: 1-line block ×3, first 2 shown]
	v_add_f64 v[231:232], v[174:175], v[233:234]
	v_fma_f64 v[212:213], v[233:234], -0.5, v[212:213]
	v_fma_f64 v[214:215], v[233:234], -0.5, v[214:215]
	v_fma_f64 v[180:181], v[229:230], s[22:23], v[180:181]
	v_fma_f64 v[241:242], v[184:185], s[12:13], v[241:242]
	;; [unrolled: 1-line block ×7, first 2 shown]
	v_add_f64 v[249:250], v[204:205], v[196:197]
	v_add_f64 v[251:252], v[206:207], v[198:199]
	v_fma_f64 v[235:236], v[235:236], -0.5, v[253:254]
	v_fma_f64 v[200:201], v[200:201], s[20:21], v[210:211]
	v_fma_f64 v[188:189], v[220:221], s[20:21], v[188:189]
	v_fma_f64 v[180:181], v[233:234], -0.5, v[180:181]
	v_fma_f64 v[210:211], v[204:205], s[18:19], v[241:242]
	v_fma_f64 v[241:242], v[192:193], s[18:19], v[243:244]
	;; [unrolled: 1-line block ×6, first 2 shown]
	v_add_f64 v[233:234], v[249:250], -v[192:193]
	v_add_f64 v[249:250], v[251:252], -v[194:195]
	v_fma_f64 v[192:193], v[237:238], -0.5, v[231:232]
	v_fma_f64 v[186:187], v[208:209], s[20:21], v[190:191]
	v_fma_f64 v[190:191], v[218:219], s[20:21], v[212:213]
	;; [unrolled: 1-line block ×3, first 2 shown]
	v_add_f64 v[212:213], v[176:177], v[239:240]
	v_add_f64 v[214:215], v[178:179], v[182:183]
	v_fma_f64 v[196:197], v[202:203], s[20:21], v[180:181]
	v_add_f64 v[176:177], v[200:201], -v[204:205]
	v_add_f64 v[184:185], v[188:189], -v[206:207]
	v_mul_f64 v[202:203], v[233:234], s[12:13]
	v_mul_f64 v[208:209], v[249:250], s[12:13]
	v_fma_f64 v[180:181], v[249:250], s[14:15], v[235:236]
	v_fma_f64 v[182:183], v[233:234], s[12:13], v[192:193]
	v_add_f64 v[188:189], v[186:187], -v[198:199]
	v_add_f64 v[190:191], v[220:221], v[190:191]
	v_add_f64 v[186:187], v[241:242], v[194:195]
	;; [unrolled: 1-line block ×5, first 2 shown]
	v_fma_f64 v[196:197], v[204:205], 2.0, v[176:177]
	v_fma_f64 v[200:201], v[206:207], 2.0, v[184:185]
	;; [unrolled: 1-line block ×3, first 2 shown]
	v_fma_f64 v[194:195], v[202:203], -2.0, v[182:183]
	v_fma_f64 v[204:205], v[198:199], 2.0, v[188:189]
	v_fma_f64 v[206:207], v[220:221], -2.0, v[190:191]
	v_fma_f64 v[202:203], v[241:242], -2.0, v[186:187]
	;; [unrolled: 1-line block ×3, first 2 shown]
	ds_write_b128 v226, v[180:183] offset:48
	ds_write_b128 v226, v[172:175]
	ds_write_b128 v226, v[176:179] offset:16
	ds_write_b128 v226, v[184:187] offset:32
	;; [unrolled: 1-line block ×7, first 2 shown]
	s_and_saveexec_b32 s24, vcc_lo
	s_cbranch_execz .LBB0_13
; %bb.12:
	v_add_f64 v[172:173], v[156:157], -v[60:61]
	v_add_f64 v[174:175], v[170:171], v[74:75]
	v_add_f64 v[176:177], v[158:159], -v[62:63]
	v_add_f64 v[178:179], v[168:169], v[72:73]
	v_add_f64 v[180:181], v[158:159], v[62:63]
	;; [unrolled: 1-line block ×3, first 2 shown]
	v_add_f64 v[184:185], v[164:165], -v[88:89]
	v_add_f64 v[186:187], v[166:167], v[90:91]
	v_add_f64 v[88:89], v[164:165], v[88:89]
	v_add_f64 v[90:91], v[166:167], -v[90:91]
	v_add_f64 v[72:73], v[168:169], -v[72:73]
	;; [unrolled: 1-line block ×3, first 2 shown]
	v_add_f64 v[204:205], v[162:163], v[66:67]
	v_add_f64 v[206:207], v[160:161], v[64:65]
	v_add_f64 v[64:65], v[160:161], -v[64:65]
	v_add_f64 v[66:67], v[162:163], -v[66:67]
	v_mul_f64 v[164:165], v[172:173], s[6:7]
	v_fma_f64 v[166:167], v[174:175], s[16:17], v[154:155]
	v_mul_f64 v[168:169], v[176:177], s[6:7]
	v_fma_f64 v[170:171], v[178:179], s[16:17], v[152:153]
	;; [unrolled: 2-line block ×3, first 2 shown]
	v_fma_f64 v[192:193], v[182:183], s[16:17], v[152:153]
	v_mul_f64 v[194:195], v[176:177], s[0:1]
	v_mul_f64 v[196:197], v[184:185], s[4:5]
	v_fma_f64 v[198:199], v[186:187], s[16:17], v[154:155]
	v_fma_f64 v[200:201], v[88:89], s[16:17], v[152:153]
	v_mul_f64 v[202:203], v[90:91], s[4:5]
	v_add_f64 v[208:209], v[174:175], v[186:187]
	v_add_f64 v[210:211], v[178:179], v[88:89]
	;; [unrolled: 1-line block ×4, first 2 shown]
	v_fma_f64 v[160:161], v[72:73], s[0:1], -v[164:165]
	v_fma_f64 v[162:163], v[180:181], s[22:23], v[166:167]
	v_fma_f64 v[164:165], v[74:75], s[0:1], -v[168:169]
	v_fma_f64 v[166:167], v[182:183], s[22:23], v[170:171]
	v_fma_f64 v[168:169], v[184:185], s[6:7], v[188:189]
	;; [unrolled: 1-line block ×9, first 2 shown]
	v_add_f64 v[218:219], v[204:205], v[208:209]
	v_add_f64 v[220:221], v[206:207], v[210:211]
	;; [unrolled: 1-line block ×6, first 2 shown]
	v_fma_f64 v[160:161], v[64:65], s[12:13], v[160:161]
	v_fma_f64 v[162:163], v[204:205], -0.5, v[162:163]
	v_fma_f64 v[164:165], v[66:67], s[12:13], v[164:165]
	v_fma_f64 v[166:167], v[206:207], -0.5, v[166:167]
	;; [unrolled: 2-line block ×3, first 2 shown]
	v_fma_f64 v[188:189], v[206:207], -0.5, v[188:189]
	v_fma_f64 v[190:191], v[66:67], s[14:15], v[190:191]
	v_fma_f64 v[64:65], v[64:65], s[12:13], v[192:193]
	v_fma_f64 v[192:193], v[204:205], -0.5, v[194:195]
	v_fma_f64 v[194:195], v[206:207], -0.5, v[196:197]
	v_fma_f64 v[66:67], v[66:67], s[12:13], v[198:199]
	v_add_f64 v[158:159], v[158:159], v[218:219]
	v_add_f64 v[156:157], v[156:157], v[220:221]
	v_add_f64 v[196:197], v[200:201], -v[72:73]
	v_add_f64 v[198:199], v[214:215], -v[74:75]
	v_fma_f64 v[200:201], v[208:209], -0.5, v[202:203]
	v_fma_f64 v[202:203], v[210:211], -0.5, v[212:213]
	v_fma_f64 v[160:161], v[184:185], s[18:19], v[160:161]
	v_fma_f64 v[162:163], v[186:187], s[20:21], v[162:163]
	;; [unrolled: 1-line block ×12, first 2 shown]
	v_add_f64 v[158:159], v[62:63], v[158:159]
	v_add_f64 v[156:157], v[60:61], v[156:157]
	v_mul_f64 v[178:179], v[196:197], s[12:13]
	v_mul_f64 v[180:181], v[198:199], s[12:13]
	v_fma_f64 v[62:63], v[196:197], s[12:13], v[200:201]
	v_fma_f64 v[60:61], v[198:199], s[14:15], v[202:203]
	v_add_f64 v[66:67], v[160:161], v[162:163]
	v_add_f64 v[64:65], v[88:89], -v[164:165]
	v_add_f64 v[74:75], v[166:167], v[72:73]
	v_add_f64 v[72:73], v[90:91], -v[168:169]
	v_add_f64 v[90:91], v[170:171], v[172:173]
	v_lshlrev_b32_e32 v172, 4, v225
	v_add_f64 v[88:89], v[174:175], -v[176:177]
	v_add_f64 v[154:155], v[154:155], v[158:159]
	v_add_f64 v[152:153], v[152:153], v[156:157]
	v_fma_f64 v[158:159], v[178:179], -2.0, v[62:63]
	v_fma_f64 v[156:157], v[180:181], 2.0, v[60:61]
	v_fma_f64 v[162:163], v[160:161], -2.0, v[66:67]
	v_fma_f64 v[160:161], v[164:165], 2.0, v[64:65]
	v_fma_f64 v[166:167], v[166:167], -2.0, v[74:75]
	v_fma_f64 v[164:165], v[168:169], 2.0, v[72:73]
	v_fma_f64 v[170:171], v[170:171], -2.0, v[90:91]
	v_fma_f64 v[168:169], v[176:177], 2.0, v[88:89]
	ds_write_b128 v172, v[60:63] offset:48
	ds_write_b128 v172, v[152:155]
	ds_write_b128 v172, v[88:91] offset:16
	ds_write_b128 v172, v[72:75] offset:32
	;; [unrolled: 1-line block ×7, first 2 shown]
.LBB0_13:
	s_or_b32 exec_lo, exec_lo, s24
	s_waitcnt lgkmcnt(0)
	s_barrier
	buffer_gl0_inv
	ds_read_b128 v[60:63], v223 offset:2016
	ds_read_b128 v[64:67], v223 offset:4032
	;; [unrolled: 1-line block ×10, first 2 shown]
	ds_read_b128 v[176:179], v223
	ds_read_b128 v[180:183], v223 offset:1008
	ds_read_b128 v[184:187], v223 offset:7056
	;; [unrolled: 1-line block ×3, first 2 shown]
	s_mov_b32 s6, 0x37e14327
	s_mov_b32 s0, 0x36b3c0b5
	;; [unrolled: 1-line block ×9, first 2 shown]
	s_waitcnt lgkmcnt(13)
	v_mul_f64 v[192:193], v[50:51], v[62:63]
	v_mul_f64 v[50:51], v[50:51], v[60:61]
	s_waitcnt lgkmcnt(12)
	v_mul_f64 v[194:195], v[46:47], v[66:67]
	v_mul_f64 v[46:47], v[46:47], v[64:65]
	s_waitcnt lgkmcnt(11)
	v_mul_f64 v[196:197], v[54:55], v[74:75]
	s_waitcnt lgkmcnt(10)
	v_mul_f64 v[198:199], v[58:59], v[90:91]
	v_mul_f64 v[58:59], v[58:59], v[88:89]
	;; [unrolled: 1-line block ×3, first 2 shown]
	s_waitcnt lgkmcnt(9)
	v_mul_f64 v[200:201], v[42:43], v[154:155]
	v_mul_f64 v[42:43], v[42:43], v[152:153]
	s_waitcnt lgkmcnt(8)
	v_mul_f64 v[202:203], v[38:39], v[158:159]
	v_mul_f64 v[38:39], v[38:39], v[156:157]
	s_mov_b32 s20, 0xb247c609
	s_mov_b32 s17, 0x3fe77f67
	;; [unrolled: 1-line block ×10, first 2 shown]
	v_fma_f64 v[60:61], v[48:49], v[60:61], v[192:193]
	v_fma_f64 v[48:49], v[48:49], v[62:63], -v[50:51]
	v_fma_f64 v[50:51], v[44:45], v[64:65], v[194:195]
	v_fma_f64 v[44:45], v[44:45], v[66:67], -v[46:47]
	v_fma_f64 v[46:47], v[52:53], v[72:73], v[196:197]
	v_fma_f64 v[62:63], v[56:57], v[88:89], v[198:199]
	v_fma_f64 v[56:57], v[56:57], v[90:91], -v[58:59]
	v_fma_f64 v[52:53], v[52:53], v[74:75], -v[54:55]
	s_waitcnt lgkmcnt(7)
	v_mul_f64 v[54:55], v[86:87], v[162:163]
	v_mul_f64 v[58:59], v[86:87], v[160:161]
	s_waitcnt lgkmcnt(6)
	v_mul_f64 v[64:65], v[82:83], v[166:167]
	v_mul_f64 v[66:67], v[82:83], v[164:165]
	;; [unrolled: 3-line block ×3, first 2 shown]
	v_mul_f64 v[86:87], v[94:95], v[170:171]
	v_mul_f64 v[88:89], v[94:95], v[168:169]
	s_waitcnt lgkmcnt(1)
	v_mul_f64 v[82:83], v[78:79], v[186:187]
	v_mul_f64 v[78:79], v[78:79], v[184:185]
	v_fma_f64 v[90:91], v[40:41], v[152:153], v[200:201]
	v_fma_f64 v[40:41], v[40:41], v[154:155], -v[42:43]
	v_fma_f64 v[42:43], v[36:37], v[156:157], v[202:203]
	v_fma_f64 v[36:37], v[36:37], v[158:159], -v[38:39]
	s_waitcnt lgkmcnt(0)
	v_mul_f64 v[38:39], v[70:71], v[190:191]
	v_mul_f64 v[70:71], v[70:71], v[188:189]
	s_mov_b32 s25, 0xbfdc38aa
	v_add_f64 v[152:153], v[50:51], v[46:47]
	v_add_f64 v[94:95], v[60:61], v[62:63]
	;; [unrolled: 1-line block ×4, first 2 shown]
	v_fma_f64 v[54:55], v[84:85], v[160:161], v[54:55]
	v_fma_f64 v[58:59], v[84:85], v[162:163], -v[58:59]
	v_fma_f64 v[64:65], v[80:81], v[164:165], v[64:65]
	v_fma_f64 v[66:67], v[80:81], v[166:167], -v[66:67]
	;; [unrolled: 2-line block ×5, first 2 shown]
	v_add_f64 v[46:47], v[50:51], -v[46:47]
	v_add_f64 v[44:45], v[44:45], -v[52:53]
	v_add_f64 v[86:87], v[90:91], v[42:43]
	v_add_f64 v[88:89], v[40:41], v[36:37]
	v_fma_f64 v[38:39], v[68:69], v[188:189], v[38:39]
	v_fma_f64 v[68:69], v[68:69], v[190:191], -v[70:71]
	v_add_f64 v[42:43], v[42:43], -v[90:91]
	v_add_f64 v[36:37], v[36:37], -v[40:41]
	;; [unrolled: 1-line block ×3, first 2 shown]
	v_add_f64 v[78:79], v[152:153], v[94:95]
	v_add_f64 v[48:49], v[48:49], -v[56:57]
	v_add_f64 v[92:93], v[154:155], v[98:99]
	v_add_f64 v[90:91], v[152:153], -v[94:95]
	s_barrier
	buffer_gl0_inv
	v_add_f64 v[50:51], v[54:55], v[72:73]
	v_add_f64 v[52:53], v[58:59], v[74:75]
	v_add_f64 v[56:57], v[58:59], -v[74:75]
	v_add_f64 v[58:59], v[64:65], v[80:81]
	v_add_f64 v[60:61], v[66:67], v[84:85]
	v_add_f64 v[54:55], v[54:55], -v[72:73]
	v_add_f64 v[62:63], v[64:65], -v[80:81]
	v_add_f64 v[64:65], v[66:67], -v[84:85]
	v_add_f64 v[66:67], v[94:95], -v[86:87]
	v_add_f64 v[70:71], v[98:99], -v[88:89]
	v_add_f64 v[72:73], v[86:87], -v[152:153]
	v_add_f64 v[74:75], v[88:89], -v[154:155]
	v_add_f64 v[80:81], v[82:83], v[38:39]
	v_add_f64 v[82:83], v[38:39], -v[82:83]
	v_add_f64 v[94:95], v[42:43], v[46:47]
	v_add_f64 v[78:79], v[86:87], v[78:79]
	;; [unrolled: 1-line block ×4, first 2 shown]
	v_add_f64 v[68:69], v[68:69], -v[76:77]
	v_add_f64 v[76:77], v[42:43], -v[46:47]
	;; [unrolled: 1-line block ×5, first 2 shown]
	v_add_f64 v[96:97], v[36:37], v[44:45]
	v_add_f64 v[46:47], v[46:47], -v[40:41]
	v_add_f64 v[42:43], v[58:59], v[50:51]
	v_add_f64 v[154:155], v[60:61], v[52:53]
	v_add_f64 v[44:45], v[44:45], -v[48:49]
	v_add_f64 v[172:173], v[62:63], -v[54:55]
	;; [unrolled: 1-line block ×3, first 2 shown]
	v_mul_f64 v[66:67], v[66:67], s[6:7]
	v_add_f64 v[152:153], v[48:49], -v[36:37]
	v_mul_f64 v[156:157], v[72:73], s[0:1]
	v_mul_f64 v[158:159], v[74:75], s[0:1]
	v_add_f64 v[160:161], v[50:51], -v[80:81]
	v_add_f64 v[164:165], v[80:81], -v[58:59]
	;; [unrolled: 1-line block ×3, first 2 shown]
	v_add_f64 v[36:37], v[176:177], v[78:79]
	v_add_f64 v[162:163], v[52:53], -v[86:87]
	v_add_f64 v[166:167], v[86:87], -v[60:61]
	v_add_f64 v[170:171], v[68:69], -v[64:65]
	v_mul_f64 v[76:77], v[76:77], s[12:13]
	v_add_f64 v[38:39], v[178:179], v[84:85]
	v_mul_f64 v[70:71], v[70:71], s[6:7]
	v_mul_f64 v[88:89], v[88:89], s[12:13]
	v_add_f64 v[48:49], v[96:97], v[48:49]
	v_mul_f64 v[96:97], v[46:47], s[4:5]
	v_add_f64 v[80:81], v[80:81], v[42:43]
	v_add_f64 v[86:87], v[86:87], v[154:155]
	v_mul_f64 v[154:155], v[44:45], s[4:5]
	v_add_f64 v[94:95], v[94:95], v[40:41]
	v_add_f64 v[50:51], v[58:59], -v[50:51]
	v_fma_f64 v[72:73], v[72:73], s[0:1], v[66:67]
	v_fma_f64 v[66:67], v[90:91], s[18:19], -v[66:67]
	v_fma_f64 v[156:157], v[90:91], s[16:17], -v[156:157]
	v_add_f64 v[52:53], v[60:61], -v[52:53]
	v_add_f64 v[58:59], v[82:83], v[62:63]
	v_add_f64 v[60:61], v[68:69], v[64:65]
	v_mul_f64 v[62:63], v[160:161], s[6:7]
	v_add_f64 v[82:83], v[54:55], -v[82:83]
	v_mul_f64 v[64:65], v[162:163], s[6:7]
	v_mul_f64 v[160:161], v[166:167], s[0:1]
	v_add_f64 v[68:69], v[56:57], -v[68:69]
	v_fma_f64 v[90:91], v[98:99], s[20:21], v[76:77]
	v_fma_f64 v[46:47], v[46:47], s[4:5], -v[76:77]
	v_mul_f64 v[76:77], v[164:165], s[0:1]
	v_mul_f64 v[162:163], v[170:171], s[12:13]
	;; [unrolled: 1-line block ×4, first 2 shown]
	v_add_f64 v[40:41], v[180:181], v[80:81]
	v_add_f64 v[42:43], v[182:183], v[86:87]
	v_mul_f64 v[176:177], v[172:173], s[4:5]
	v_fma_f64 v[158:159], v[92:93], s[16:17], -v[158:159]
	v_fma_f64 v[78:79], v[78:79], s[14:15], v[36:37]
	v_fma_f64 v[84:85], v[84:85], s[14:15], v[38:39]
	;; [unrolled: 1-line block ×3, first 2 shown]
	v_fma_f64 v[70:71], v[92:93], s[18:19], -v[70:71]
	v_fma_f64 v[92:93], v[152:153], s[20:21], v[88:89]
	v_fma_f64 v[44:45], v[44:45], s[4:5], -v[88:89]
	v_fma_f64 v[88:89], v[98:99], s[22:23], -v[96:97]
	;; [unrolled: 1-line block ×3, first 2 shown]
	v_add_f64 v[54:55], v[58:59], v[54:55]
	v_add_f64 v[56:57], v[60:61], v[56:57]
	v_fma_f64 v[154:155], v[52:53], s[16:17], -v[160:161]
	v_fma_f64 v[52:53], v[52:53], s[18:19], -v[64:65]
	v_fma_f64 v[76:77], v[50:51], s[16:17], -v[76:77]
	v_fma_f64 v[50:51], v[50:51], s[18:19], -v[62:63]
	v_fma_f64 v[58:59], v[80:81], s[14:15], v[40:41]
	v_fma_f64 v[60:61], v[86:87], s[14:15], v[42:43]
	;; [unrolled: 1-line block ×6, first 2 shown]
	v_fma_f64 v[68:69], v[68:69], s[22:23], -v[170:171]
	v_fma_f64 v[82:83], v[82:83], s[22:23], -v[176:177]
	v_add_f64 v[98:99], v[156:157], v[78:79]
	v_add_f64 v[152:153], v[158:159], v[84:85]
	v_fma_f64 v[156:157], v[174:175], s[4:5], -v[162:163]
	v_fma_f64 v[158:159], v[172:173], s[4:5], -v[168:169]
	v_add_f64 v[72:73], v[72:73], v[78:79]
	v_add_f64 v[74:75], v[74:75], v[84:85]
	v_add_f64 v[66:67], v[66:67], v[78:79]
	v_add_f64 v[70:71], v[70:71], v[84:85]
	v_fma_f64 v[78:79], v[48:49], s[24:25], v[92:93]
	v_fma_f64 v[84:85], v[94:95], s[24:25], v[90:91]
	;; [unrolled: 1-line block ×6, first 2 shown]
	v_add_f64 v[162:163], v[52:53], v[60:61]
	v_add_f64 v[96:97], v[80:81], v[58:59]
	;; [unrolled: 1-line block ×3, first 2 shown]
	v_fma_f64 v[164:165], v[56:57], s[24:25], v[62:63]
	v_fma_f64 v[166:167], v[54:55], s[24:25], v[64:65]
	v_add_f64 v[86:87], v[154:155], v[60:61]
	v_add_f64 v[154:155], v[50:51], v[58:59]
	v_fma_f64 v[168:169], v[56:57], s[24:25], v[68:69]
	v_fma_f64 v[170:171], v[54:55], s[24:25], v[82:83]
	v_add_f64 v[80:81], v[76:77], v[58:59]
	v_fma_f64 v[82:83], v[56:57], s[24:25], v[156:157]
	v_fma_f64 v[156:157], v[54:55], s[24:25], v[158:159]
	v_add_f64 v[44:45], v[78:79], v[72:73]
	v_add_f64 v[46:47], v[74:75], -v[84:85]
	v_add_f64 v[48:49], v[90:91], v[66:67]
	v_add_f64 v[50:51], v[70:71], -v[88:89]
	v_add_f64 v[52:53], v[98:99], -v[92:93]
	v_add_f64 v[54:55], v[94:95], v[152:153]
	v_add_f64 v[56:57], v[92:93], v[98:99]
	v_add_f64 v[58:59], v[152:153], -v[94:95]
	v_add_f64 v[60:61], v[66:67], -v[90:91]
	v_add_f64 v[62:63], v[88:89], v[70:71]
	v_add_f64 v[64:65], v[72:73], -v[78:79]
	v_add_f64 v[66:67], v[84:85], v[74:75]
	v_add_f64 v[68:69], v[164:165], v[96:97]
	v_add_f64 v[70:71], v[160:161], -v[166:167]
	v_add_f64 v[72:73], v[168:169], v[154:155]
	v_add_f64 v[74:75], v[162:163], -v[170:171]
	v_add_f64 v[84:85], v[154:155], -v[168:169]
	v_add_f64 v[76:77], v[80:81], -v[82:83]
	v_add_f64 v[78:79], v[156:157], v[86:87]
	v_add_f64 v[80:81], v[82:83], v[80:81]
	v_add_f64 v[82:83], v[86:87], -v[156:157]
	v_add_f64 v[86:87], v[170:171], v[162:163]
	v_add_f64 v[88:89], v[96:97], -v[164:165]
	v_add_f64 v[90:91], v[166:167], v[160:161]
	ds_write_b128 v227, v[36:39]
	ds_write_b128 v227, v[44:47] offset:144
	ds_write_b128 v227, v[48:51] offset:288
	;; [unrolled: 1-line block ×6, first 2 shown]
	ds_write_b128 v228, v[40:43]
	ds_write_b128 v228, v[68:71] offset:144
	ds_write_b128 v228, v[72:75] offset:288
	;; [unrolled: 1-line block ×6, first 2 shown]
	s_waitcnt lgkmcnt(0)
	s_barrier
	buffer_gl0_inv
	ds_read_b128 v[36:39], v223 offset:2016
	ds_read_b128 v[40:43], v223 offset:4032
	ds_read_b128 v[44:47], v223 offset:12096
	ds_read_b128 v[48:51], v223 offset:10080
	ds_read_b128 v[52:55], v223 offset:6048
	ds_read_b128 v[56:59], v223 offset:8064
	ds_read_b128 v[60:63], v223 offset:3024
	ds_read_b128 v[64:67], v223 offset:5040
	ds_read_b128 v[68:71], v223 offset:11088
	ds_read_b128 v[72:75], v223 offset:13104
	ds_read_b128 v[76:79], v223 offset:7056
	ds_read_b128 v[80:83], v223 offset:9072
	s_waitcnt lgkmcnt(11)
	v_mul_f64 v[84:85], v[102:103], v[38:39]
	v_mul_f64 v[86:87], v[102:103], v[36:37]
	s_waitcnt lgkmcnt(10)
	v_mul_f64 v[88:89], v[106:107], v[42:43]
	v_mul_f64 v[90:91], v[106:107], v[40:41]
	;; [unrolled: 3-line block ×6, first 2 shown]
	v_fma_f64 v[36:37], v[100:101], v[36:37], v[84:85]
	v_fma_f64 v[38:39], v[100:101], v[38:39], -v[86:87]
	v_fma_f64 v[40:41], v[104:105], v[40:41], v[88:89]
	v_fma_f64 v[42:43], v[104:105], v[42:43], -v[90:91]
	;; [unrolled: 2-line block ×4, first 2 shown]
	s_waitcnt lgkmcnt(5)
	v_mul_f64 v[84:85], v[102:103], v[62:63]
	v_mul_f64 v[86:87], v[102:103], v[60:61]
	s_waitcnt lgkmcnt(4)
	v_mul_f64 v[88:89], v[106:107], v[66:67]
	v_mul_f64 v[90:91], v[106:107], v[64:65]
	;; [unrolled: 3-line block ×3, first 2 shown]
	v_mul_f64 v[96:97], v[118:119], v[70:71]
	v_mul_f64 v[98:99], v[118:119], v[68:69]
	v_fma_f64 v[52:53], v[112:113], v[52:53], v[152:153]
	v_fma_f64 v[54:55], v[112:113], v[54:55], -v[154:155]
	v_fma_f64 v[56:57], v[108:109], v[56:57], v[156:157]
	v_fma_f64 v[58:59], v[108:109], v[58:59], -v[158:159]
	s_waitcnt lgkmcnt(1)
	v_mul_f64 v[152:153], v[114:115], v[78:79]
	v_mul_f64 v[114:115], v[114:115], v[76:77]
	v_add_f64 v[102:103], v[36:37], v[44:45]
	v_add_f64 v[106:107], v[38:39], v[46:47]
	;; [unrolled: 1-line block ×4, first 2 shown]
	v_fma_f64 v[60:61], v[100:101], v[60:61], v[84:85]
	v_fma_f64 v[62:63], v[100:101], v[62:63], -v[86:87]
	s_waitcnt lgkmcnt(0)
	v_mul_f64 v[84:85], v[110:111], v[82:83]
	v_mul_f64 v[86:87], v[110:111], v[80:81]
	v_fma_f64 v[64:65], v[104:105], v[64:65], v[88:89]
	v_fma_f64 v[66:67], v[104:105], v[66:67], -v[90:91]
	v_fma_f64 v[72:73], v[120:121], v[72:73], v[92:93]
	v_fma_f64 v[74:75], v[120:121], v[74:75], -v[94:95]
	;; [unrolled: 2-line block ×3, first 2 shown]
	v_add_f64 v[88:89], v[52:53], v[56:57]
	v_add_f64 v[90:91], v[54:55], v[58:59]
	v_fma_f64 v[76:77], v[112:113], v[76:77], v[152:153]
	v_fma_f64 v[78:79], v[112:113], v[78:79], -v[114:115]
	v_add_f64 v[48:49], v[40:41], -v[48:49]
	v_add_f64 v[50:51], v[42:43], -v[50:51]
	;; [unrolled: 1-line block ×6, first 2 shown]
	v_add_f64 v[92:93], v[118:119], v[102:103]
	v_add_f64 v[94:95], v[122:123], v[106:107]
	v_add_f64 v[96:97], v[118:119], -v[102:103]
	v_add_f64 v[98:99], v[122:123], -v[106:107]
	v_fma_f64 v[56:57], v[108:109], v[80:81], v[84:85]
	v_fma_f64 v[58:59], v[108:109], v[82:83], -v[86:87]
	ds_read_b128 v[36:39], v223
	ds_read_b128 v[40:43], v223 offset:1008
	s_waitcnt lgkmcnt(0)
	v_add_f64 v[80:81], v[60:61], v[72:73]
	v_add_f64 v[82:83], v[62:63], v[74:75]
	;; [unrolled: 1-line block ×4, first 2 shown]
	v_add_f64 v[100:101], v[102:103], -v[88:89]
	v_add_f64 v[102:103], v[106:107], -v[90:91]
	;; [unrolled: 1-line block ×6, first 2 shown]
	v_add_f64 v[104:105], v[52:53], v[48:49]
	v_add_f64 v[106:107], v[54:55], v[50:51]
	v_add_f64 v[108:109], v[52:53], -v[48:49]
	v_add_f64 v[110:111], v[54:55], -v[50:51]
	v_add_f64 v[92:93], v[88:89], v[92:93]
	v_add_f64 v[94:95], v[90:91], v[94:95]
	v_add_f64 v[88:89], v[88:89], -v[118:119]
	v_add_f64 v[90:91], v[90:91], -v[122:123]
	;; [unrolled: 4-line block ×3, first 2 shown]
	v_add_f64 v[48:49], v[48:49], -v[44:45]
	v_add_f64 v[50:51], v[50:51], -v[46:47]
	v_add_f64 v[116:117], v[84:85], v[80:81]
	v_add_f64 v[118:119], v[86:87], v[82:83]
	v_add_f64 v[52:53], v[44:45], -v[52:53]
	v_add_f64 v[54:55], v[46:47], -v[54:55]
	v_mul_f64 v[68:69], v[100:101], s[6:7]
	v_mul_f64 v[70:71], v[102:103], s[6:7]
	v_add_f64 v[120:121], v[66:67], -v[62:63]
	v_add_f64 v[122:123], v[64:65], -v[60:61]
	v_add_f64 v[44:45], v[104:105], v[44:45]
	v_add_f64 v[46:47], v[106:107], v[46:47]
	v_mul_f64 v[76:77], v[108:109], s[12:13]
	v_mul_f64 v[78:79], v[110:111], s[12:13]
	v_add_f64 v[36:37], v[36:37], v[92:93]
	v_add_f64 v[38:39], v[38:39], v[94:95]
	v_mul_f64 v[72:73], v[88:89], s[0:1]
	v_mul_f64 v[74:75], v[90:91], s[0:1]
	v_add_f64 v[108:109], v[80:81], -v[112:113]
	v_add_f64 v[110:111], v[82:83], -v[114:115]
	;; [unrolled: 1-line block ×4, first 2 shown]
	v_mul_f64 v[100:101], v[48:49], s[4:5]
	v_mul_f64 v[102:103], v[50:51], s[4:5]
	v_add_f64 v[104:105], v[112:113], v[116:117]
	v_add_f64 v[106:107], v[114:115], v[118:119]
	v_add_f64 v[112:113], v[112:113], -v[84:85]
	v_add_f64 v[114:115], v[114:115], -v[86:87]
	;; [unrolled: 1-line block ×4, first 2 shown]
	v_fma_f64 v[88:89], v[88:89], s[0:1], v[68:69]
	v_fma_f64 v[90:91], v[90:91], s[0:1], v[70:71]
	v_fma_f64 v[68:69], v[96:97], s[18:19], -v[68:69]
	v_fma_f64 v[70:71], v[98:99], s[18:19], -v[70:71]
	v_add_f64 v[64:65], v[56:57], v[64:65]
	v_add_f64 v[66:67], v[58:59], v[66:67]
	v_fma_f64 v[92:93], v[92:93], s[14:15], v[36:37]
	v_fma_f64 v[94:95], v[94:95], s[14:15], v[38:39]
	v_fma_f64 v[72:73], v[96:97], s[16:17], -v[72:73]
	v_fma_f64 v[74:75], v[98:99], s[16:17], -v[74:75]
	v_mul_f64 v[84:85], v[108:109], s[6:7]
	v_mul_f64 v[86:87], v[110:111], s[6:7]
	v_add_f64 v[56:57], v[60:61], -v[56:57]
	v_add_f64 v[58:59], v[62:63], -v[58:59]
	v_fma_f64 v[152:153], v[52:53], s[20:21], v[76:77]
	v_fma_f64 v[154:155], v[54:55], s[20:21], v[78:79]
	v_add_f64 v[40:41], v[40:41], v[104:105]
	v_add_f64 v[42:43], v[42:43], v[106:107]
	v_mul_f64 v[96:97], v[112:113], s[0:1]
	v_mul_f64 v[98:99], v[114:115], s[0:1]
	;; [unrolled: 1-line block ×6, first 2 shown]
	v_fma_f64 v[52:53], v[52:53], s[22:23], -v[100:101]
	v_fma_f64 v[54:55], v[54:55], s[22:23], -v[102:103]
	;; [unrolled: 1-line block ×4, first 2 shown]
	v_add_f64 v[76:77], v[88:89], v[92:93]
	v_add_f64 v[78:79], v[90:91], v[94:95]
	;; [unrolled: 1-line block ×4, first 2 shown]
	v_fma_f64 v[88:89], v[112:113], s[0:1], v[84:85]
	v_fma_f64 v[90:91], v[114:115], s[0:1], v[86:87]
	v_add_f64 v[72:73], v[72:73], v[92:93]
	v_add_f64 v[74:75], v[74:75], v[94:95]
	;; [unrolled: 1-line block ×4, first 2 shown]
	v_fma_f64 v[64:65], v[104:105], s[14:15], v[40:41]
	v_fma_f64 v[66:67], v[106:107], s[14:15], v[42:43]
	v_fma_f64 v[96:97], v[80:81], s[16:17], -v[96:97]
	v_fma_f64 v[98:99], v[82:83], s[16:17], -v[98:99]
	;; [unrolled: 1-line block ×4, first 2 shown]
	v_fma_f64 v[84:85], v[58:59], s[20:21], v[108:109]
	v_fma_f64 v[86:87], v[56:57], s[20:21], v[110:111]
	v_fma_f64 v[58:59], v[58:59], s[22:23], -v[116:117]
	v_fma_f64 v[56:57], v[56:57], s[22:23], -v[118:119]
	;; [unrolled: 1-line block ×4, first 2 shown]
	v_fma_f64 v[92:93], v[46:47], s[24:25], v[154:155]
	v_fma_f64 v[94:95], v[44:45], s[24:25], v[152:153]
	;; [unrolled: 1-line block ×6, first 2 shown]
	s_barrier
	buffer_gl0_inv
	s_mov_b32 s4, 0x5bb804a5
	s_mov_b32 s5, 0x3f529372
	v_add_f64 v[88:89], v[88:89], v[64:65]
	v_add_f64 v[90:91], v[90:91], v[66:67]
	;; [unrolled: 1-line block ×6, first 2 shown]
	v_fma_f64 v[116:117], v[62:63], s[24:25], v[84:85]
	v_fma_f64 v[118:119], v[60:61], s[24:25], v[86:87]
	;; [unrolled: 1-line block ×6, first 2 shown]
	v_add_f64 v[44:45], v[92:93], v[76:77]
	v_add_f64 v[46:47], v[78:79], -v[94:95]
	v_add_f64 v[48:49], v[104:105], v[68:69]
	v_add_f64 v[50:51], v[70:71], -v[106:107]
	v_add_f64 v[52:53], v[72:73], -v[108:109]
	v_add_f64 v[54:55], v[110:111], v[74:75]
	v_add_f64 v[56:57], v[108:109], v[72:73]
	v_add_f64 v[58:59], v[74:75], -v[110:111]
	v_add_f64 v[60:61], v[68:69], -v[104:105]
	v_add_f64 v[62:63], v[106:107], v[70:71]
	v_add_f64 v[64:65], v[76:77], -v[92:93]
	v_add_f64 v[66:67], v[94:95], v[78:79]
	s_mul_hi_u32 s1, s8, 0x62
	v_add_f64 v[68:69], v[116:117], v[88:89]
	v_add_f64 v[70:71], v[90:91], -v[118:119]
	v_add_f64 v[72:73], v[84:85], v[112:113]
	v_add_f64 v[74:75], v[114:115], -v[86:87]
	v_add_f64 v[76:77], v[96:97], -v[80:81]
	v_add_f64 v[78:79], v[82:83], v[98:99]
	v_add_f64 v[80:81], v[80:81], v[96:97]
	v_add_f64 v[82:83], v[98:99], -v[82:83]
	v_add_f64 v[84:85], v[112:113], -v[84:85]
	v_add_f64 v[86:87], v[86:87], v[114:115]
	v_add_f64 v[88:89], v[88:89], -v[116:117]
	v_add_f64 v[90:91], v[118:119], v[90:91]
	ds_write_b128 v223, v[36:39]
	ds_write_b128 v223, v[44:47] offset:1008
	ds_write_b128 v223, v[48:51] offset:2016
	;; [unrolled: 1-line block ×13, first 2 shown]
	s_waitcnt lgkmcnt(0)
	s_barrier
	buffer_gl0_inv
	ds_read_b128 v[36:39], v223 offset:7056
	ds_read_b128 v[40:43], v223 offset:8064
	;; [unrolled: 1-line block ×8, first 2 shown]
	ds_read_b128 v[68:71], v223
	ds_read_b128 v[72:75], v223 offset:1008
	ds_read_b128 v[76:79], v223 offset:2016
	ds_read_b128 v[80:83], v223 offset:3024
	ds_read_b128 v[84:87], v223 offset:4032
	ds_read_b128 v[88:91], v223 offset:5040
	s_waitcnt lgkmcnt(13)
	v_mul_f64 v[92:93], v[126:127], v[38:39]
	v_mul_f64 v[94:95], v[126:127], v[36:37]
	s_waitcnt lgkmcnt(12)
	v_mul_f64 v[96:97], v[130:131], v[42:43]
	v_mul_f64 v[98:99], v[130:131], v[40:41]
	;; [unrolled: 3-line block ×7, first 2 shown]
	v_fma_f64 v[36:37], v[124:125], v[36:37], v[92:93]
	v_fma_f64 v[38:39], v[124:125], v[38:39], -v[94:95]
	v_fma_f64 v[40:41], v[128:129], v[40:41], v[96:97]
	v_fma_f64 v[42:43], v[128:129], v[42:43], -v[98:99]
	;; [unrolled: 2-line block ×7, first 2 shown]
	s_waitcnt lgkmcnt(5)
	v_add_f64 v[36:37], v[68:69], -v[36:37]
	v_add_f64 v[38:39], v[70:71], -v[38:39]
	s_waitcnt lgkmcnt(4)
	v_add_f64 v[40:41], v[72:73], -v[40:41]
	v_add_f64 v[42:43], v[74:75], -v[42:43]
	;; [unrolled: 3-line block ×6, first 2 shown]
	v_add_f64 v[60:61], v[64:65], -v[60:61]
	v_add_f64 v[62:63], v[66:67], -v[62:63]
	v_fma_f64 v[68:69], v[68:69], 2.0, -v[36:37]
	v_fma_f64 v[70:71], v[70:71], 2.0, -v[38:39]
	v_fma_f64 v[72:73], v[72:73], 2.0, -v[40:41]
	v_fma_f64 v[74:75], v[74:75], 2.0, -v[42:43]
	v_fma_f64 v[76:77], v[76:77], 2.0, -v[44:45]
	v_fma_f64 v[78:79], v[78:79], 2.0, -v[46:47]
	v_fma_f64 v[80:81], v[80:81], 2.0, -v[48:49]
	v_fma_f64 v[82:83], v[82:83], 2.0, -v[50:51]
	v_fma_f64 v[84:85], v[84:85], 2.0, -v[52:53]
	v_fma_f64 v[86:87], v[86:87], 2.0, -v[54:55]
	v_fma_f64 v[88:89], v[88:89], 2.0, -v[56:57]
	v_fma_f64 v[90:91], v[90:91], 2.0, -v[58:59]
	v_fma_f64 v[64:65], v[64:65], 2.0, -v[60:61]
	v_fma_f64 v[66:67], v[66:67], 2.0, -v[62:63]
	ds_write_b128 v223, v[68:71]
	ds_write_b128 v223, v[36:39] offset:7056
	ds_write_b128 v223, v[72:75] offset:1008
	;; [unrolled: 1-line block ×13, first 2 shown]
	s_waitcnt lgkmcnt(0)
	s_barrier
	buffer_gl0_inv
	ds_read_b128 v[36:39], v223
	ds_read_b128 v[40:43], v223 offset:1568
	v_mad_u64_u32 v[46:47], null, s10, v222, 0
	v_mad_u64_u32 v[52:53], null, s8, v224, 0
	s_waitcnt lgkmcnt(1)
	v_mul_f64 v[44:45], v[6:7], v[38:39]
	v_mul_f64 v[6:7], v[6:7], v[36:37]
	s_waitcnt lgkmcnt(0)
	v_mul_f64 v[48:49], v[2:3], v[42:43]
	v_mul_f64 v[2:3], v[2:3], v[40:41]
	v_fma_f64 v[36:37], v[4:5], v[36:37], v[44:45]
	v_mov_b32_e32 v44, v47
	v_mov_b32_e32 v45, v53
	v_fma_f64 v[38:39], v[4:5], v[38:39], -v[6:7]
	ds_read_b128 v[4:7], v223 offset:3136
	v_fma_f64 v[40:41], v[0:1], v[40:41], v[48:49]
	v_fma_f64 v[2:3], v[0:1], v[42:43], -v[2:3]
	v_mad_u64_u32 v[50:51], null, s11, v222, v[44:45]
	v_mad_u64_u32 v[44:45], null, s9, v224, v[45:46]
	v_mov_b32_e32 v47, v50
	ds_read_b128 v[48:51], v223 offset:6272
	v_mov_b32_e32 v53, v44
	v_lshlrev_b64 v[54:55], 4, v[46:47]
	ds_read_b128 v[44:47], v223 offset:4704
	v_mul_f64 v[36:37], v[36:37], s[4:5]
	v_lshlrev_b64 v[70:71], 4, v[52:53]
	s_waitcnt lgkmcnt(2)
	v_mul_f64 v[68:69], v[34:35], v[6:7]
	v_mul_f64 v[38:39], v[38:39], s[4:5]
	;; [unrolled: 1-line block ×3, first 2 shown]
	v_add_co_u32 v72, s0, s2, v54
	v_add_co_ci_u32_e64 v73, s0, s3, v55, s0
	ds_read_b128 v[52:55], v223 offset:7840
	ds_read_b128 v[56:59], v223 offset:9408
	;; [unrolled: 1-line block ×4, first 2 shown]
	v_add_co_u32 v70, s0, v72, v70
	v_add_co_ci_u32_e64 v71, s0, v73, v71, s0
	v_mul_f64 v[0:1], v[40:41], s[4:5]
	s_mul_i32 s0, s9, 0x62
	v_mul_f64 v[2:3], v[2:3], s[4:5]
	s_add_i32 s1, s1, s0
	s_mul_i32 s0, s8, 0x62
	s_waitcnt lgkmcnt(4)
	v_mul_f64 v[42:43], v[18:19], v[46:47]
	v_mul_f64 v[18:19], v[18:19], v[44:45]
	s_lshl_b64 s[2:3], s[0:1], 4
	v_fma_f64 v[4:5], v[32:33], v[4:5], v[68:69]
	global_store_dwordx4 v[70:71], v[36:39], off
	v_mul_f64 v[36:37], v[14:15], v[50:51]
	v_mul_f64 v[14:15], v[14:15], v[48:49]
	v_fma_f64 v[6:7], v[32:33], v[6:7], -v[34:35]
	s_waitcnt lgkmcnt(3)
	v_mul_f64 v[32:33], v[10:11], v[54:55]
	v_mul_f64 v[10:11], v[10:11], v[52:53]
	s_waitcnt lgkmcnt(2)
	v_mul_f64 v[34:35], v[26:27], v[58:59]
	v_mul_f64 v[26:27], v[26:27], v[56:57]
	;; [unrolled: 3-line block ×4, first 2 shown]
	v_fma_f64 v[42:43], v[16:17], v[44:45], v[42:43]
	v_fma_f64 v[16:17], v[16:17], v[46:47], -v[18:19]
	v_add_co_u32 v44, s0, v70, s2
	v_add_co_ci_u32_e64 v45, s0, s3, v71, s0
	v_mul_f64 v[4:5], v[4:5], s[4:5]
	v_fma_f64 v[18:19], v[12:13], v[48:49], v[36:37]
	v_fma_f64 v[14:15], v[12:13], v[50:51], -v[14:15]
	v_add_co_u32 v46, s0, v44, s2
	v_fma_f64 v[32:33], v[8:9], v[52:53], v[32:33]
	v_fma_f64 v[36:37], v[8:9], v[54:55], -v[10:11]
	v_fma_f64 v[34:35], v[24:25], v[56:57], v[34:35]
	v_fma_f64 v[24:25], v[24:25], v[58:59], -v[26:27]
	;; [unrolled: 2-line block ×4, first 2 shown]
	v_add_co_ci_u32_e64 v47, s0, s3, v45, s0
	v_mul_f64 v[6:7], v[6:7], s[4:5]
	v_mul_f64 v[8:9], v[42:43], s[4:5]
	v_add_co_u32 v42, s0, v46, s2
	v_add_co_ci_u32_e64 v43, s0, s3, v47, s0
	v_mul_f64 v[10:11], v[16:17], s[4:5]
	v_add_co_u32 v48, s0, v42, s2
	v_add_co_ci_u32_e64 v49, s0, s3, v43, s0
	v_mul_f64 v[12:13], v[18:19], s[4:5]
	v_mul_f64 v[14:15], v[14:15], s[4:5]
	;; [unrolled: 1-line block ×3, first 2 shown]
	v_add_co_u32 v32, s0, v48, s2
	v_mul_f64 v[18:19], v[36:37], s[4:5]
	v_mul_f64 v[20:21], v[34:35], s[4:5]
	;; [unrolled: 1-line block ×3, first 2 shown]
	v_add_co_ci_u32_e64 v33, s0, s3, v49, s0
	v_mul_f64 v[24:25], v[26:27], s[4:5]
	v_mul_f64 v[26:27], v[38:39], s[4:5]
	;; [unrolled: 1-line block ×4, first 2 shown]
	global_store_dwordx4 v[44:45], v[0:3], off
	v_add_co_u32 v2, s0, v32, s2
	v_add_co_ci_u32_e64 v3, s0, s3, v33, s0
	global_store_dwordx4 v[46:47], v[4:7], off
	v_add_co_u32 v4, s0, v2, s2
	v_add_co_ci_u32_e64 v5, s0, s3, v3, s0
	;; [unrolled: 3-line block ×3, first 2 shown]
	global_store_dwordx4 v[48:49], v[12:15], off
	global_store_dwordx4 v[32:33], v[16:19], off
	;; [unrolled: 1-line block ×5, first 2 shown]
	s_and_b32 exec_lo, exec_lo, vcc_lo
	s_cbranch_execz .LBB0_15
; %bb.14:
	global_load_dwordx4 v[2:5], v[216:217], off offset:1008
	s_clause 0x1
	buffer_load_dword v6, off, s[28:31], 0 offset:40
	buffer_load_dword v7, off, s[28:31], 0 offset:44
	s_mul_i32 s0, s9, 0xffffd2f0
	s_sub_i32 s0, s0, s8
	s_waitcnt vmcnt(0)
	global_load_dwordx4 v[6:9], v[6:7], off offset:528
	s_clause 0x1
	buffer_load_dword v36, off, s[28:31], 0 offset:24
	buffer_load_dword v37, off, s[28:31], 0 offset:28
	s_waitcnt vmcnt(0)
	global_load_dwordx4 v[10:13], v[36:37], off offset:48
	ds_read_b128 v[14:17], v223 offset:1008
	ds_read_b128 v[18:21], v223 offset:2576
	;; [unrolled: 1-line block ×4, first 2 shown]
	s_waitcnt lgkmcnt(3)
	v_mul_f64 v[30:31], v[16:17], v[4:5]
	v_mul_f64 v[4:5], v[14:15], v[4:5]
	s_waitcnt lgkmcnt(2)
	v_mul_f64 v[32:33], v[20:21], v[8:9]
	v_mul_f64 v[8:9], v[18:19], v[8:9]
	v_fma_f64 v[14:15], v[14:15], v[2:3], v[30:31]
	v_fma_f64 v[2:3], v[2:3], v[16:17], -v[4:5]
	v_fma_f64 v[4:5], v[18:19], v[6:7], v[32:33]
	v_fma_f64 v[6:7], v[6:7], v[20:21], -v[8:9]
	v_mul_f64 v[2:3], v[2:3], s[4:5]
	v_mul_f64 v[4:5], v[4:5], s[4:5]
	v_mul_f64 v[6:7], v[6:7], s[4:5]
	s_waitcnt vmcnt(0) lgkmcnt(1)
	v_mul_f64 v[34:35], v[24:25], v[12:13]
	v_mul_f64 v[12:13], v[22:23], v[12:13]
	v_fma_f64 v[8:9], v[22:23], v[10:11], v[34:35]
	v_fma_f64 v[10:11], v[10:11], v[24:25], -v[12:13]
	v_mad_u64_u32 v[12:13], null, 0xffffd2f0, s8, v[0:1]
	v_mul_f64 v[0:1], v[14:15], s[4:5]
	v_add_nc_u32_e32 v13, s0, v13
	v_add_co_u32 v14, vcc_lo, v12, s2
	v_add_co_ci_u32_e32 v15, vcc_lo, s3, v13, vcc_lo
	v_add_co_u32 v16, vcc_lo, v14, s2
	v_add_co_ci_u32_e32 v17, vcc_lo, s3, v15, vcc_lo
	v_mul_f64 v[8:9], v[8:9], s[4:5]
	v_mul_f64 v[10:11], v[10:11], s[4:5]
	global_store_dwordx4 v[12:13], v[0:3], off
	global_store_dwordx4 v[14:15], v[4:7], off
	;; [unrolled: 1-line block ×3, first 2 shown]
	global_load_dwordx4 v[0:3], v[36:37], off offset:1616
	v_add_co_u32 v12, vcc_lo, v16, s2
	v_add_co_ci_u32_e32 v13, vcc_lo, s3, v17, vcc_lo
	s_waitcnt vmcnt(0) lgkmcnt(0)
	v_mul_f64 v[4:5], v[28:29], v[2:3]
	v_mul_f64 v[2:3], v[26:27], v[2:3]
	v_fma_f64 v[4:5], v[26:27], v[0:1], v[4:5]
	v_fma_f64 v[2:3], v[0:1], v[28:29], -v[2:3]
	v_mul_f64 v[0:1], v[4:5], s[4:5]
	v_mul_f64 v[2:3], v[2:3], s[4:5]
	global_store_dwordx4 v[12:13], v[0:3], off
	s_clause 0x1
	buffer_load_dword v0, off, s[28:31], 0 offset:16
	buffer_load_dword v1, off, s[28:31], 0 offset:20
	s_waitcnt vmcnt(0)
	global_load_dwordx4 v[0:3], v[0:1], off offset:1136
	ds_read_b128 v[4:7], v223 offset:7280
	ds_read_b128 v[8:11], v223 offset:8848
	s_waitcnt vmcnt(0) lgkmcnt(1)
	v_mul_f64 v[14:15], v[6:7], v[2:3]
	v_mul_f64 v[2:3], v[4:5], v[2:3]
	v_fma_f64 v[4:5], v[4:5], v[0:1], v[14:15]
	v_fma_f64 v[2:3], v[0:1], v[6:7], -v[2:3]
	v_mul_f64 v[0:1], v[4:5], s[4:5]
	v_mul_f64 v[2:3], v[2:3], s[4:5]
	v_add_co_u32 v4, vcc_lo, v12, s2
	v_add_co_ci_u32_e32 v5, vcc_lo, s3, v13, vcc_lo
	v_add_co_u32 v12, vcc_lo, v4, s2
	v_add_co_ci_u32_e32 v13, vcc_lo, s3, v5, vcc_lo
	global_store_dwordx4 v[4:5], v[0:3], off
	s_clause 0x1
	buffer_load_dword v0, off, s[28:31], 0 offset:32
	buffer_load_dword v1, off, s[28:31], 0 offset:36
	s_waitcnt vmcnt(0)
	global_load_dwordx4 v[0:3], v[0:1], off offset:656
	s_waitcnt vmcnt(0) lgkmcnt(0)
	v_mul_f64 v[6:7], v[10:11], v[2:3]
	v_mul_f64 v[2:3], v[8:9], v[2:3]
	v_fma_f64 v[6:7], v[8:9], v[0:1], v[6:7]
	v_fma_f64 v[2:3], v[0:1], v[10:11], -v[2:3]
	v_mul_f64 v[0:1], v[6:7], s[4:5]
	v_mul_f64 v[2:3], v[2:3], s[4:5]
	global_store_dwordx4 v[12:13], v[0:3], off
	s_clause 0x1
	buffer_load_dword v16, off, s[28:31], 0 offset:8
	buffer_load_dword v17, off, s[28:31], 0 offset:12
	s_waitcnt vmcnt(0)
	global_load_dwordx4 v[0:3], v[16:17], off offset:176
	ds_read_b128 v[4:7], v223 offset:10416
	ds_read_b128 v[8:11], v223 offset:11984
	s_waitcnt vmcnt(0) lgkmcnt(1)
	v_mul_f64 v[14:15], v[6:7], v[2:3]
	v_mul_f64 v[2:3], v[4:5], v[2:3]
	v_fma_f64 v[4:5], v[4:5], v[0:1], v[14:15]
	v_fma_f64 v[2:3], v[0:1], v[6:7], -v[2:3]
	v_mul_f64 v[0:1], v[4:5], s[4:5]
	v_mul_f64 v[2:3], v[2:3], s[4:5]
	v_add_co_u32 v4, vcc_lo, v12, s2
	v_add_co_ci_u32_e32 v5, vcc_lo, s3, v13, vcc_lo
	global_store_dwordx4 v[4:5], v[0:3], off
	global_load_dwordx4 v[0:3], v[16:17], off offset:1744
	s_waitcnt vmcnt(0) lgkmcnt(0)
	v_mul_f64 v[6:7], v[10:11], v[2:3]
	v_mul_f64 v[2:3], v[8:9], v[2:3]
	v_fma_f64 v[6:7], v[8:9], v[0:1], v[6:7]
	v_fma_f64 v[2:3], v[0:1], v[10:11], -v[2:3]
	v_add_co_u32 v8, vcc_lo, v4, s2
	v_add_co_ci_u32_e32 v9, vcc_lo, s3, v5, vcc_lo
	v_mul_f64 v[0:1], v[6:7], s[4:5]
	v_mul_f64 v[2:3], v[2:3], s[4:5]
	global_store_dwordx4 v[8:9], v[0:3], off
	s_clause 0x1
	buffer_load_dword v0, off, s[28:31], 0
	buffer_load_dword v1, off, s[28:31], 0 offset:4
	ds_read_b128 v[4:7], v223 offset:13552
	s_waitcnt vmcnt(0)
	global_load_dwordx4 v[0:3], v[0:1], off offset:1264
	s_waitcnt vmcnt(0) lgkmcnt(0)
	v_mul_f64 v[10:11], v[6:7], v[2:3]
	v_mul_f64 v[2:3], v[4:5], v[2:3]
	v_fma_f64 v[4:5], v[4:5], v[0:1], v[10:11]
	v_fma_f64 v[2:3], v[0:1], v[6:7], -v[2:3]
	v_mul_f64 v[0:1], v[4:5], s[4:5]
	v_mul_f64 v[2:3], v[2:3], s[4:5]
	v_add_co_u32 v4, vcc_lo, v8, s2
	v_add_co_ci_u32_e32 v5, vcc_lo, s3, v9, vcc_lo
	global_store_dwordx4 v[4:5], v[0:3], off
.LBB0_15:
	s_endpgm
	.section	.rodata,"a",@progbits
	.p2align	6, 0x0
	.amdhsa_kernel bluestein_single_back_len882_dim1_dp_op_CI_CI
		.amdhsa_group_segment_fixed_size 14112
		.amdhsa_private_segment_fixed_size 52
		.amdhsa_kernarg_size 104
		.amdhsa_user_sgpr_count 6
		.amdhsa_user_sgpr_private_segment_buffer 1
		.amdhsa_user_sgpr_dispatch_ptr 0
		.amdhsa_user_sgpr_queue_ptr 0
		.amdhsa_user_sgpr_kernarg_segment_ptr 1
		.amdhsa_user_sgpr_dispatch_id 0
		.amdhsa_user_sgpr_flat_scratch_init 0
		.amdhsa_user_sgpr_private_segment_size 0
		.amdhsa_wavefront_size32 1
		.amdhsa_uses_dynamic_stack 0
		.amdhsa_system_sgpr_private_segment_wavefront_offset 1
		.amdhsa_system_sgpr_workgroup_id_x 1
		.amdhsa_system_sgpr_workgroup_id_y 0
		.amdhsa_system_sgpr_workgroup_id_z 0
		.amdhsa_system_sgpr_workgroup_info 0
		.amdhsa_system_vgpr_workitem_id 0
		.amdhsa_next_free_vgpr 255
		.amdhsa_next_free_sgpr 32
		.amdhsa_reserve_vcc 1
		.amdhsa_reserve_flat_scratch 0
		.amdhsa_float_round_mode_32 0
		.amdhsa_float_round_mode_16_64 0
		.amdhsa_float_denorm_mode_32 3
		.amdhsa_float_denorm_mode_16_64 3
		.amdhsa_dx10_clamp 1
		.amdhsa_ieee_mode 1
		.amdhsa_fp16_overflow 0
		.amdhsa_workgroup_processor_mode 1
		.amdhsa_memory_ordered 1
		.amdhsa_forward_progress 0
		.amdhsa_shared_vgpr_count 0
		.amdhsa_exception_fp_ieee_invalid_op 0
		.amdhsa_exception_fp_denorm_src 0
		.amdhsa_exception_fp_ieee_div_zero 0
		.amdhsa_exception_fp_ieee_overflow 0
		.amdhsa_exception_fp_ieee_underflow 0
		.amdhsa_exception_fp_ieee_inexact 0
		.amdhsa_exception_int_div_zero 0
	.end_amdhsa_kernel
	.text
.Lfunc_end0:
	.size	bluestein_single_back_len882_dim1_dp_op_CI_CI, .Lfunc_end0-bluestein_single_back_len882_dim1_dp_op_CI_CI
                                        ; -- End function
	.section	.AMDGPU.csdata,"",@progbits
; Kernel info:
; codeLenInByte = 19652
; NumSgprs: 34
; NumVgprs: 255
; ScratchSize: 52
; MemoryBound: 0
; FloatMode: 240
; IeeeMode: 1
; LDSByteSize: 14112 bytes/workgroup (compile time only)
; SGPRBlocks: 4
; VGPRBlocks: 31
; NumSGPRsForWavesPerEU: 34
; NumVGPRsForWavesPerEU: 255
; Occupancy: 4
; WaveLimiterHint : 1
; COMPUTE_PGM_RSRC2:SCRATCH_EN: 1
; COMPUTE_PGM_RSRC2:USER_SGPR: 6
; COMPUTE_PGM_RSRC2:TRAP_HANDLER: 0
; COMPUTE_PGM_RSRC2:TGID_X_EN: 1
; COMPUTE_PGM_RSRC2:TGID_Y_EN: 0
; COMPUTE_PGM_RSRC2:TGID_Z_EN: 0
; COMPUTE_PGM_RSRC2:TIDIG_COMP_CNT: 0
	.text
	.p2alignl 6, 3214868480
	.fill 48, 4, 3214868480
	.type	__hip_cuid_429e7a94b150278d,@object ; @__hip_cuid_429e7a94b150278d
	.section	.bss,"aw",@nobits
	.globl	__hip_cuid_429e7a94b150278d
__hip_cuid_429e7a94b150278d:
	.byte	0                               ; 0x0
	.size	__hip_cuid_429e7a94b150278d, 1

	.ident	"AMD clang version 19.0.0git (https://github.com/RadeonOpenCompute/llvm-project roc-6.4.0 25133 c7fe45cf4b819c5991fe208aaa96edf142730f1d)"
	.section	".note.GNU-stack","",@progbits
	.addrsig
	.addrsig_sym __hip_cuid_429e7a94b150278d
	.amdgpu_metadata
---
amdhsa.kernels:
  - .args:
      - .actual_access:  read_only
        .address_space:  global
        .offset:         0
        .size:           8
        .value_kind:     global_buffer
      - .actual_access:  read_only
        .address_space:  global
        .offset:         8
        .size:           8
        .value_kind:     global_buffer
      - .actual_access:  read_only
        .address_space:  global
        .offset:         16
        .size:           8
        .value_kind:     global_buffer
      - .actual_access:  read_only
        .address_space:  global
        .offset:         24
        .size:           8
        .value_kind:     global_buffer
      - .actual_access:  read_only
        .address_space:  global
        .offset:         32
        .size:           8
        .value_kind:     global_buffer
      - .offset:         40
        .size:           8
        .value_kind:     by_value
      - .address_space:  global
        .offset:         48
        .size:           8
        .value_kind:     global_buffer
      - .address_space:  global
        .offset:         56
        .size:           8
        .value_kind:     global_buffer
      - .address_space:  global
        .offset:         64
        .size:           8
        .value_kind:     global_buffer
      - .address_space:  global
        .offset:         72
        .size:           8
        .value_kind:     global_buffer
      - .offset:         80
        .size:           4
        .value_kind:     by_value
      - .address_space:  global
        .offset:         88
        .size:           8
        .value_kind:     global_buffer
      - .address_space:  global
        .offset:         96
        .size:           8
        .value_kind:     global_buffer
    .group_segment_fixed_size: 14112
    .kernarg_segment_align: 8
    .kernarg_segment_size: 104
    .language:       OpenCL C
    .language_version:
      - 2
      - 0
    .max_flat_workgroup_size: 63
    .name:           bluestein_single_back_len882_dim1_dp_op_CI_CI
    .private_segment_fixed_size: 52
    .sgpr_count:     34
    .sgpr_spill_count: 0
    .symbol:         bluestein_single_back_len882_dim1_dp_op_CI_CI.kd
    .uniform_work_group_size: 1
    .uses_dynamic_stack: false
    .vgpr_count:     255
    .vgpr_spill_count: 12
    .wavefront_size: 32
    .workgroup_processor_mode: 1
amdhsa.target:   amdgcn-amd-amdhsa--gfx1030
amdhsa.version:
  - 1
  - 2
...

	.end_amdgpu_metadata
